;; amdgpu-corpus repo=ROCm/rocFFT kind=compiled arch=gfx906 opt=O3
	.text
	.amdgcn_target "amdgcn-amd-amdhsa--gfx906"
	.amdhsa_code_object_version 6
	.protected	fft_rtc_back_len325_factors_13_5_5_wgs_52_tpt_13_sp_ip_CI_unitstride_sbrr_dirReg ; -- Begin function fft_rtc_back_len325_factors_13_5_5_wgs_52_tpt_13_sp_ip_CI_unitstride_sbrr_dirReg
	.globl	fft_rtc_back_len325_factors_13_5_5_wgs_52_tpt_13_sp_ip_CI_unitstride_sbrr_dirReg
	.p2align	8
	.type	fft_rtc_back_len325_factors_13_5_5_wgs_52_tpt_13_sp_ip_CI_unitstride_sbrr_dirReg,@function
fft_rtc_back_len325_factors_13_5_5_wgs_52_tpt_13_sp_ip_CI_unitstride_sbrr_dirReg: ; @fft_rtc_back_len325_factors_13_5_5_wgs_52_tpt_13_sp_ip_CI_unitstride_sbrr_dirReg
; %bb.0:
	s_load_dwordx2 s[2:3], s[4:5], 0x50
	s_load_dwordx4 s[8:11], s[4:5], 0x0
	s_load_dwordx2 s[12:13], s[4:5], 0x18
	v_mul_u32_u24_e32 v1, 0x13b2, v0
	v_lshrrev_b32_e32 v9, 16, v1
	v_mov_b32_e32 v3, 0
	s_waitcnt lgkmcnt(0)
	v_cmp_lt_u64_e64 s[0:1], s[10:11], 2
	v_mov_b32_e32 v1, 0
	v_lshl_add_u32 v5, s6, 2, v9
	v_mov_b32_e32 v6, v3
	s_and_b64 vcc, exec, s[0:1]
	v_mov_b32_e32 v2, 0
	s_cbranch_vccnz .LBB0_8
; %bb.1:
	s_load_dwordx2 s[0:1], s[4:5], 0x10
	s_add_u32 s6, s12, 8
	s_addc_u32 s7, s13, 0
	v_mov_b32_e32 v1, 0
	v_mov_b32_e32 v2, 0
	s_waitcnt lgkmcnt(0)
	s_add_u32 s14, s0, 8
	s_addc_u32 s15, s1, 0
	s_mov_b64 s[16:17], 1
.LBB0_2:                                ; =>This Inner Loop Header: Depth=1
	s_load_dwordx2 s[18:19], s[14:15], 0x0
                                        ; implicit-def: $vgpr7_vgpr8
	s_waitcnt lgkmcnt(0)
	v_or_b32_e32 v4, s19, v6
	v_cmp_ne_u64_e32 vcc, 0, v[3:4]
	s_and_saveexec_b64 s[0:1], vcc
	s_xor_b64 s[20:21], exec, s[0:1]
	s_cbranch_execz .LBB0_4
; %bb.3:                                ;   in Loop: Header=BB0_2 Depth=1
	v_cvt_f32_u32_e32 v4, s18
	v_cvt_f32_u32_e32 v7, s19
	s_sub_u32 s0, 0, s18
	s_subb_u32 s1, 0, s19
	v_mac_f32_e32 v4, 0x4f800000, v7
	v_rcp_f32_e32 v4, v4
	v_mul_f32_e32 v4, 0x5f7ffffc, v4
	v_mul_f32_e32 v7, 0x2f800000, v4
	v_trunc_f32_e32 v7, v7
	v_mac_f32_e32 v4, 0xcf800000, v7
	v_cvt_u32_f32_e32 v7, v7
	v_cvt_u32_f32_e32 v4, v4
	v_mul_lo_u32 v8, s0, v7
	v_mul_hi_u32 v10, s0, v4
	v_mul_lo_u32 v12, s1, v4
	v_mul_lo_u32 v11, s0, v4
	v_add_u32_e32 v8, v10, v8
	v_add_u32_e32 v8, v8, v12
	v_mul_hi_u32 v10, v4, v11
	v_mul_lo_u32 v12, v4, v8
	v_mul_hi_u32 v14, v4, v8
	v_mul_hi_u32 v13, v7, v11
	v_mul_lo_u32 v11, v7, v11
	v_mul_hi_u32 v15, v7, v8
	v_add_co_u32_e32 v10, vcc, v10, v12
	v_addc_co_u32_e32 v12, vcc, 0, v14, vcc
	v_mul_lo_u32 v8, v7, v8
	v_add_co_u32_e32 v10, vcc, v10, v11
	v_addc_co_u32_e32 v10, vcc, v12, v13, vcc
	v_addc_co_u32_e32 v11, vcc, 0, v15, vcc
	v_add_co_u32_e32 v8, vcc, v10, v8
	v_addc_co_u32_e32 v10, vcc, 0, v11, vcc
	v_add_co_u32_e32 v4, vcc, v4, v8
	v_addc_co_u32_e32 v7, vcc, v7, v10, vcc
	v_mul_lo_u32 v8, s0, v7
	v_mul_hi_u32 v10, s0, v4
	v_mul_lo_u32 v11, s1, v4
	v_mul_lo_u32 v12, s0, v4
	v_add_u32_e32 v8, v10, v8
	v_add_u32_e32 v8, v8, v11
	v_mul_lo_u32 v13, v4, v8
	v_mul_hi_u32 v14, v4, v12
	v_mul_hi_u32 v15, v4, v8
	;; [unrolled: 1-line block ×3, first 2 shown]
	v_mul_lo_u32 v12, v7, v12
	v_mul_hi_u32 v10, v7, v8
	v_add_co_u32_e32 v13, vcc, v14, v13
	v_addc_co_u32_e32 v14, vcc, 0, v15, vcc
	v_mul_lo_u32 v8, v7, v8
	v_add_co_u32_e32 v12, vcc, v13, v12
	v_addc_co_u32_e32 v11, vcc, v14, v11, vcc
	v_addc_co_u32_e32 v10, vcc, 0, v10, vcc
	v_add_co_u32_e32 v8, vcc, v11, v8
	v_addc_co_u32_e32 v10, vcc, 0, v10, vcc
	v_add_co_u32_e32 v4, vcc, v4, v8
	v_addc_co_u32_e32 v10, vcc, v7, v10, vcc
	v_mad_u64_u32 v[7:8], s[0:1], v5, v10, 0
	v_mul_hi_u32 v11, v5, v4
	v_add_co_u32_e32 v12, vcc, v11, v7
	v_addc_co_u32_e32 v13, vcc, 0, v8, vcc
	v_mad_u64_u32 v[7:8], s[0:1], v6, v4, 0
	v_mad_u64_u32 v[10:11], s[0:1], v6, v10, 0
	v_add_co_u32_e32 v4, vcc, v12, v7
	v_addc_co_u32_e32 v4, vcc, v13, v8, vcc
	v_addc_co_u32_e32 v7, vcc, 0, v11, vcc
	v_add_co_u32_e32 v4, vcc, v4, v10
	v_addc_co_u32_e32 v10, vcc, 0, v7, vcc
	v_mul_lo_u32 v11, s19, v4
	v_mul_lo_u32 v12, s18, v10
	v_mad_u64_u32 v[7:8], s[0:1], s18, v4, 0
	v_add3_u32 v8, v8, v12, v11
	v_sub_u32_e32 v11, v6, v8
	v_mov_b32_e32 v12, s19
	v_sub_co_u32_e32 v7, vcc, v5, v7
	v_subb_co_u32_e64 v11, s[0:1], v11, v12, vcc
	v_subrev_co_u32_e64 v12, s[0:1], s18, v7
	v_subbrev_co_u32_e64 v11, s[0:1], 0, v11, s[0:1]
	v_cmp_le_u32_e64 s[0:1], s19, v11
	v_cndmask_b32_e64 v13, 0, -1, s[0:1]
	v_cmp_le_u32_e64 s[0:1], s18, v12
	v_cndmask_b32_e64 v12, 0, -1, s[0:1]
	v_cmp_eq_u32_e64 s[0:1], s19, v11
	v_cndmask_b32_e64 v11, v13, v12, s[0:1]
	v_add_co_u32_e64 v12, s[0:1], 2, v4
	v_addc_co_u32_e64 v13, s[0:1], 0, v10, s[0:1]
	v_add_co_u32_e64 v14, s[0:1], 1, v4
	v_addc_co_u32_e64 v15, s[0:1], 0, v10, s[0:1]
	v_subb_co_u32_e32 v8, vcc, v6, v8, vcc
	v_cmp_ne_u32_e64 s[0:1], 0, v11
	v_cmp_le_u32_e32 vcc, s19, v8
	v_cndmask_b32_e64 v11, v15, v13, s[0:1]
	v_cndmask_b32_e64 v13, 0, -1, vcc
	v_cmp_le_u32_e32 vcc, s18, v7
	v_cndmask_b32_e64 v7, 0, -1, vcc
	v_cmp_eq_u32_e32 vcc, s19, v8
	v_cndmask_b32_e32 v7, v13, v7, vcc
	v_cmp_ne_u32_e32 vcc, 0, v7
	v_cndmask_b32_e64 v7, v14, v12, s[0:1]
	v_cndmask_b32_e32 v8, v10, v11, vcc
	v_cndmask_b32_e32 v7, v4, v7, vcc
.LBB0_4:                                ;   in Loop: Header=BB0_2 Depth=1
	s_andn2_saveexec_b64 s[0:1], s[20:21]
	s_cbranch_execz .LBB0_6
; %bb.5:                                ;   in Loop: Header=BB0_2 Depth=1
	v_cvt_f32_u32_e32 v4, s18
	s_sub_i32 s20, 0, s18
	v_rcp_iflag_f32_e32 v4, v4
	v_mul_f32_e32 v4, 0x4f7ffffe, v4
	v_cvt_u32_f32_e32 v4, v4
	v_mul_lo_u32 v7, s20, v4
	v_mul_hi_u32 v7, v4, v7
	v_add_u32_e32 v4, v4, v7
	v_mul_hi_u32 v4, v5, v4
	v_mul_lo_u32 v7, v4, s18
	v_add_u32_e32 v8, 1, v4
	v_sub_u32_e32 v7, v5, v7
	v_subrev_u32_e32 v10, s18, v7
	v_cmp_le_u32_e32 vcc, s18, v7
	v_cndmask_b32_e32 v7, v7, v10, vcc
	v_cndmask_b32_e32 v4, v4, v8, vcc
	v_add_u32_e32 v8, 1, v4
	v_cmp_le_u32_e32 vcc, s18, v7
	v_cndmask_b32_e32 v7, v4, v8, vcc
	v_mov_b32_e32 v8, v3
.LBB0_6:                                ;   in Loop: Header=BB0_2 Depth=1
	s_or_b64 exec, exec, s[0:1]
	v_mul_lo_u32 v4, v8, s18
	v_mul_lo_u32 v12, v7, s19
	v_mad_u64_u32 v[10:11], s[0:1], v7, s18, 0
	s_load_dwordx2 s[0:1], s[6:7], 0x0
	s_add_u32 s16, s16, 1
	v_add3_u32 v4, v11, v12, v4
	v_sub_co_u32_e32 v5, vcc, v5, v10
	v_subb_co_u32_e32 v4, vcc, v6, v4, vcc
	s_waitcnt lgkmcnt(0)
	v_mul_lo_u32 v4, s0, v4
	v_mul_lo_u32 v6, s1, v5
	v_mad_u64_u32 v[1:2], s[0:1], s0, v5, v[1:2]
	s_addc_u32 s17, s17, 0
	s_add_u32 s6, s6, 8
	v_add3_u32 v2, v6, v2, v4
	v_mov_b32_e32 v4, s10
	v_mov_b32_e32 v5, s11
	s_addc_u32 s7, s7, 0
	v_cmp_ge_u64_e32 vcc, s[16:17], v[4:5]
	s_add_u32 s14, s14, 8
	s_addc_u32 s15, s15, 0
	s_cbranch_vccnz .LBB0_9
; %bb.7:                                ;   in Loop: Header=BB0_2 Depth=1
	v_mov_b32_e32 v5, v7
	v_mov_b32_e32 v6, v8
	s_branch .LBB0_2
.LBB0_8:
	v_mov_b32_e32 v8, v6
	v_mov_b32_e32 v7, v5
.LBB0_9:
	s_lshl_b64 s[0:1], s[10:11], 3
	s_add_u32 s0, s12, s0
	s_addc_u32 s1, s13, s1
	s_load_dwordx2 s[6:7], s[0:1], 0x0
	s_load_dwordx2 s[10:11], s[4:5], 0x20
	v_and_b32_e32 v3, 3, v9
	s_waitcnt lgkmcnt(0)
	v_mad_u64_u32 v[1:2], s[0:1], s6, v7, v[1:2]
	s_mov_b32 s0, 0x13b13b14
	v_mul_lo_u32 v4, s6, v8
	v_mul_lo_u32 v5, s7, v7
	v_mul_hi_u32 v6, v0, s0
	v_cmp_gt_u64_e32 vcc, s[10:11], v[7:8]
	v_cmp_le_u64_e64 s[0:1], s[10:11], v[7:8]
	v_add3_u32 v2, v5, v2, v4
	v_mul_u32_u24_e32 v4, 13, v6
	v_sub_u32_e32 v48, v0, v4
	v_add_u32_e32 v58, 13, v48
	s_and_saveexec_b64 s[4:5], s[0:1]
	s_xor_b64 s[0:1], exec, s[4:5]
; %bb.10:
	v_add_u32_e32 v58, 13, v48
; %bb.11:
	s_or_saveexec_b64 s[4:5], s[0:1]
	v_mul_u32_u24_e32 v0, 0x145, v3
	v_lshlrev_b64 v[50:51], 3, v[1:2]
	v_lshlrev_b32_e32 v59, 3, v0
	v_lshlrev_b32_e32 v8, 3, v48
	s_xor_b64 exec, exec, s[4:5]
	s_cbranch_execz .LBB0_13
; %bb.12:
	v_mov_b32_e32 v49, 0
	v_mov_b32_e32 v0, s3
	v_add_co_u32_e64 v2, s[0:1], s2, v50
	v_addc_co_u32_e64 v3, s[0:1], v0, v51, s[0:1]
	v_lshlrev_b64 v[0:1], 3, v[48:49]
	v_add_co_u32_e64 v0, s[0:1], v2, v0
	v_addc_co_u32_e64 v1, s[0:1], v3, v1, s[0:1]
	global_load_dwordx2 v[2:3], v[0:1], off
	global_load_dwordx2 v[4:5], v[0:1], off offset:104
	global_load_dwordx2 v[6:7], v[0:1], off offset:208
	global_load_dwordx2 v[9:10], v[0:1], off offset:312
	global_load_dwordx2 v[11:12], v[0:1], off offset:416
	global_load_dwordx2 v[13:14], v[0:1], off offset:520
	global_load_dwordx2 v[15:16], v[0:1], off offset:624
	global_load_dwordx2 v[17:18], v[0:1], off offset:728
	global_load_dwordx2 v[19:20], v[0:1], off offset:832
	global_load_dwordx2 v[21:22], v[0:1], off offset:936
	global_load_dwordx2 v[23:24], v[0:1], off offset:1040
	global_load_dwordx2 v[25:26], v[0:1], off offset:1144
	global_load_dwordx2 v[27:28], v[0:1], off offset:1248
	global_load_dwordx2 v[29:30], v[0:1], off offset:1352
	global_load_dwordx2 v[31:32], v[0:1], off offset:1456
	global_load_dwordx2 v[33:34], v[0:1], off offset:1560
	global_load_dwordx2 v[35:36], v[0:1], off offset:1664
	global_load_dwordx2 v[37:38], v[0:1], off offset:1768
	global_load_dwordx2 v[39:40], v[0:1], off offset:1872
	global_load_dwordx2 v[41:42], v[0:1], off offset:1976
	global_load_dwordx2 v[43:44], v[0:1], off offset:2080
	global_load_dwordx2 v[45:46], v[0:1], off offset:2184
	global_load_dwordx2 v[52:53], v[0:1], off offset:2288
	global_load_dwordx2 v[54:55], v[0:1], off offset:2392
	global_load_dwordx2 v[56:57], v[0:1], off offset:2496
	v_add3_u32 v0, 0, v59, v8
	v_add_u32_e32 v1, 0x800, v0
	s_waitcnt vmcnt(23)
	ds_write2_b64 v0, v[2:3], v[4:5] offset1:13
	s_waitcnt vmcnt(21)
	ds_write2_b64 v0, v[6:7], v[9:10] offset0:26 offset1:39
	s_waitcnt vmcnt(19)
	ds_write2_b64 v0, v[11:12], v[13:14] offset0:52 offset1:65
	;; [unrolled: 2-line block ×11, first 2 shown]
	s_waitcnt vmcnt(0)
	ds_write_b64 v0, v[56:57] offset:2496
.LBB0_13:
	s_or_b64 exec, exec, s[4:5]
	v_add_u32_e32 v0, 0, v8
	v_add_u32_e32 v49, v0, v59
	;; [unrolled: 1-line block ×3, first 2 shown]
	s_waitcnt lgkmcnt(0)
	; wave barrier
	s_waitcnt lgkmcnt(0)
	ds_read2_b64 v[0:3], v49 offset0:13 offset1:25
	ds_read2_b64 v[4:7], v57 offset0:32 offset1:44
	v_add_u32_e32 v63, 0, v59
	v_add_u32_e32 v56, v63, v8
	ds_read2_b64 v[12:15], v49 offset0:38 offset1:50
	ds_read2_b64 v[8:11], v57 offset0:7 offset1:19
	ds_read_b64 v[54:55], v56
	ds_read_b64 v[52:53], v49 offset:2504
	s_waitcnt lgkmcnt(4)
	v_sub_f32_e32 v62, v3, v7
	v_mul_f32_e32 v61, 0xbeedf032, v62
	s_waitcnt lgkmcnt(2)
	v_sub_f32_e32 v88, v15, v11
	v_add_f32_e32 v60, v6, v2
	v_mov_b32_e32 v16, v61
	v_mul_f32_e32 v65, 0xbf52af12, v88
	v_fmac_f32_e32 v16, 0x3f62ad3f, v60
	v_add_f32_e32 v64, v10, v14
	v_mov_b32_e32 v17, v65
	v_add_f32_e32 v89, v7, v3
	s_waitcnt lgkmcnt(1)
	v_add_f32_e32 v16, v54, v16
	v_fmac_f32_e32 v17, 0x3f116cb1, v64
	v_mul_f32_e32 v66, 0x3f62ad3f, v89
	v_add_f32_e32 v20, v17, v16
	v_sub_f32_e32 v67, v2, v6
	v_mov_b32_e32 v16, v66
	v_fmac_f32_e32 v16, 0x3eedf032, v67
	v_add_f32_e32 v21, v55, v16
	ds_read2_b64 v[44:47], v49 offset0:63 offset1:75
	ds_read2_b64 v[16:19], v49 offset0:238 offset1:250
	v_add_f32_e32 v90, v11, v15
	v_mul_f32_e32 v69, 0x3f116cb1, v90
	v_sub_f32_e32 v68, v14, v10
	v_mov_b32_e32 v22, v69
	s_waitcnt lgkmcnt(0)
	v_sub_f32_e32 v91, v47, v19
	v_fmac_f32_e32 v22, 0x3f52af12, v68
	v_mul_f32_e32 v71, 0xbf7e222b, v91
	v_add_f32_e32 v24, v22, v21
	v_add_f32_e32 v70, v18, v46
	v_mov_b32_e32 v21, v71
	v_fmac_f32_e32 v21, 0x3df6dbef, v70
	v_add_f32_e32 v25, v21, v20
	ds_read2_b64 v[40:43], v49 offset0:88 offset1:100
	ds_read2_b64 v[20:23], v49 offset0:213 offset1:225
	v_add_f32_e32 v92, v19, v47
	v_mul_f32_e32 v73, 0x3df6dbef, v92
	v_sub_f32_e32 v72, v46, v18
	v_mov_b32_e32 v26, v73
	s_waitcnt lgkmcnt(0)
	v_sub_f32_e32 v93, v43, v23
	v_fmac_f32_e32 v26, 0x3f7e222b, v72
	v_mul_f32_e32 v75, 0xbf6f5d39, v93
	v_add_f32_e32 v28, v26, v24
	v_add_f32_e32 v74, v22, v42
	;; [unrolled: 15-line block ×3, first 2 shown]
	v_mov_b32_e32 v28, v79
	v_fmac_f32_e32 v28, 0xbf3f9e67, v78
	v_add_f32_e32 v84, v28, v29
	ds_read2_b64 v[32:35], v49 offset0:138 offset1:150
	ds_read2_b64 v[28:31], v49 offset0:163 offset1:175
	v_add_f32_e32 v2, v54, v2
	v_add_f32_e32 v3, v55, v3
	;; [unrolled: 1-line block ×5, first 2 shown]
	v_mul_f32_e32 v81, 0xbf3f9e67, v96
	v_add_f32_e32 v2, v2, v46
	v_add_f32_e32 v3, v3, v47
	v_sub_f32_e32 v80, v38, v26
	v_mov_b32_e32 v83, v81
	v_add_f32_e32 v2, v2, v42
	v_add_f32_e32 v3, v3, v43
	v_fmac_f32_e32 v83, 0x3f29c268, v80
	s_waitcnt lgkmcnt(0)
	v_sub_f32_e32 v97, v35, v31
	v_add_f32_e32 v2, v2, v38
	v_add_f32_e32 v3, v3, v39
	;; [unrolled: 1-line block ×3, first 2 shown]
	v_mul_f32_e32 v83, 0xbe750f2a, v97
	v_add_f32_e32 v2, v2, v34
	v_add_f32_e32 v3, v3, v35
	;; [unrolled: 1-line block ×3, first 2 shown]
	v_mov_b32_e32 v85, v83
	v_add_f32_e32 v2, v2, v30
	v_add_f32_e32 v3, v3, v31
	v_fmac_f32_e32 v85, 0xbf788fa5, v82
	v_add_f32_e32 v98, v31, v35
	v_add_f32_e32 v2, v2, v26
	;; [unrolled: 1-line block ×4, first 2 shown]
	v_mul_f32_e32 v84, 0xbf788fa5, v98
	v_add_f32_e32 v2, v2, v22
	v_add_f32_e32 v3, v3, v23
	v_sub_f32_e32 v85, v34, v30
	v_mov_b32_e32 v99, v84
	v_add_f32_e32 v2, v2, v18
	v_add_f32_e32 v3, v3, v19
	v_fmac_f32_e32 v99, 0x3e750f2a, v85
	v_add_f32_e32 v2, v2, v10
	v_add_f32_e32 v3, v3, v11
	s_movk_i32 s0, 0x68
	v_add_f32_e32 v87, v99, v87
	v_add_f32_e32 v2, v2, v6
	;; [unrolled: 1-line block ×3, first 2 shown]
	v_mad_u32_u24 v10, v48, s0, v63
	v_mul_f32_e32 v11, 0xbf52af12, v62
	s_waitcnt lgkmcnt(0)
	; wave barrier
	ds_write2_b64 v10, v[2:3], v[86:87] offset1:1
	v_mov_b32_e32 v2, v11
	v_mul_f32_e32 v14, 0xbf6f5d39, v88
	v_fmac_f32_e32 v2, 0x3f116cb1, v60
	v_mov_b32_e32 v3, v14
	v_add_f32_e32 v2, v54, v2
	v_fmac_f32_e32 v3, 0xbeb58ec6, v64
	v_mul_f32_e32 v15, 0x3f116cb1, v89
	v_add_f32_e32 v2, v3, v2
	v_mov_b32_e32 v3, v15
	v_mul_f32_e32 v18, 0xbeb58ec6, v90
	v_fmac_f32_e32 v3, 0x3f52af12, v67
	v_mov_b32_e32 v6, v18
	v_add_f32_e32 v3, v55, v3
	v_fmac_f32_e32 v6, 0x3f6f5d39, v68
	v_mul_f32_e32 v19, 0xbe750f2a, v91
	v_add_f32_e32 v3, v6, v3
	v_mov_b32_e32 v6, v19
	v_fmac_f32_e32 v6, 0xbf788fa5, v70
	v_mul_f32_e32 v22, 0xbf788fa5, v92
	v_add_f32_e32 v2, v6, v2
	v_mov_b32_e32 v6, v22
	;; [unrolled: 4-line block ×9, first 2 shown]
	v_mul_f32_e32 v38, 0xbe750f2a, v88
	v_fmac_f32_e32 v6, 0x3df6dbef, v60
	v_mov_b32_e32 v7, v38
	v_add_f32_e32 v6, v54, v6
	v_fmac_f32_e32 v7, 0xbf788fa5, v64
	v_mul_f32_e32 v39, 0x3df6dbef, v89
	v_add_f32_e32 v6, v7, v6
	v_mov_b32_e32 v7, v39
	v_mul_f32_e32 v42, 0xbf788fa5, v90
	v_fmac_f32_e32 v7, 0x3f7e222b, v67
	v_mov_b32_e32 v43, v42
	v_add_f32_e32 v7, v55, v7
	v_fmac_f32_e32 v43, 0x3e750f2a, v68
	v_add_f32_e32 v7, v43, v7
	v_mul_f32_e32 v43, 0x3f6f5d39, v91
	v_mov_b32_e32 v46, v43
	v_fmac_f32_e32 v46, 0xbeb58ec6, v70
	v_add_f32_e32 v6, v46, v6
	v_mul_f32_e32 v46, 0xbeb58ec6, v92
	v_mov_b32_e32 v47, v46
	;; [unrolled: 4-line block ×8, first 2 shown]
	v_fmac_f32_e32 v101, 0x3f29c268, v85
	v_add_f32_e32 v7, v101, v7
	v_mul_f32_e32 v101, 0xbf6f5d39, v62
	ds_write2_b64 v10, v[2:3], v[6:7] offset0:2 offset1:3
	v_mov_b32_e32 v2, v101
	v_mul_f32_e32 v102, 0x3f29c268, v88
	v_fmac_f32_e32 v2, 0xbeb58ec6, v60
	v_mov_b32_e32 v3, v102
	v_add_f32_e32 v2, v54, v2
	v_fmac_f32_e32 v3, 0xbf3f9e67, v64
	v_mul_f32_e32 v103, 0xbeb58ec6, v89
	v_add_f32_e32 v2, v3, v2
	v_mov_b32_e32 v3, v103
	v_mul_f32_e32 v104, 0xbf3f9e67, v90
	v_fmac_f32_e32 v3, 0x3f6f5d39, v67
	v_mov_b32_e32 v6, v104
	v_add_f32_e32 v3, v55, v3
	v_fmac_f32_e32 v6, 0xbf29c268, v68
	v_mul_f32_e32 v105, 0x3eedf032, v91
	v_add_f32_e32 v3, v6, v3
	v_mov_b32_e32 v6, v105
	v_fmac_f32_e32 v6, 0x3f62ad3f, v70
	v_mul_f32_e32 v106, 0x3f62ad3f, v92
	v_add_f32_e32 v2, v6, v2
	v_mov_b32_e32 v6, v106
	;; [unrolled: 4-line block ×9, first 2 shown]
	v_mul_f32_e32 v114, 0x3f7e222b, v88
	v_fmac_f32_e32 v6, 0xbf3f9e67, v60
	v_mov_b32_e32 v7, v114
	v_add_f32_e32 v6, v54, v6
	v_fmac_f32_e32 v7, 0x3df6dbef, v64
	v_mul_f32_e32 v115, 0xbf3f9e67, v89
	v_add_f32_e32 v6, v7, v6
	v_mov_b32_e32 v7, v115
	v_mul_f32_e32 v116, 0x3df6dbef, v90
	v_fmac_f32_e32 v7, 0x3f29c268, v67
	v_mov_b32_e32 v117, v116
	v_add_f32_e32 v7, v55, v7
	v_fmac_f32_e32 v117, 0xbf7e222b, v68
	v_add_f32_e32 v7, v117, v7
	v_mul_f32_e32 v117, 0xbf52af12, v91
	v_mov_b32_e32 v118, v117
	v_fmac_f32_e32 v118, 0x3f116cb1, v70
	v_add_f32_e32 v6, v118, v6
	v_mul_f32_e32 v118, 0x3f116cb1, v92
	v_mov_b32_e32 v119, v118
	;; [unrolled: 4-line block ×8, first 2 shown]
	v_fmac_f32_e32 v125, 0x3f6f5d39, v85
	v_add_f32_e32 v7, v125, v7
	ds_write2_b64 v10, v[2:3], v[6:7] offset0:4 offset1:5
	v_mul_f32_e32 v6, 0xbe750f2a, v62
	v_mov_b32_e32 v2, v6
	v_mul_f32_e32 v7, 0x3eedf032, v88
	v_fmac_f32_e32 v2, 0xbf788fa5, v60
	v_mov_b32_e32 v3, v7
	v_add_f32_e32 v2, v54, v2
	v_fmac_f32_e32 v3, 0x3f62ad3f, v64
	v_mul_f32_e32 v62, 0xbf788fa5, v89
	v_add_f32_e32 v2, v3, v2
	v_mov_b32_e32 v3, v62
	v_mul_f32_e32 v88, 0x3f62ad3f, v90
	v_fmac_f32_e32 v3, 0x3e750f2a, v67
	v_mov_b32_e32 v89, v88
	v_add_f32_e32 v3, v55, v3
	v_fmac_f32_e32 v89, 0xbeedf032, v68
	v_add_f32_e32 v3, v89, v3
	v_mul_f32_e32 v89, 0xbf29c268, v91
	v_mov_b32_e32 v90, v89
	v_fmac_f32_e32 v90, 0xbf3f9e67, v70
	v_add_f32_e32 v2, v90, v2
	v_mul_f32_e32 v90, 0xbf3f9e67, v92
	v_mov_b32_e32 v91, v90
	;; [unrolled: 4-line block ×6, first 2 shown]
	s_mov_b32 s6, 0xbf788fa5
	v_fmac_f32_e32 v95, 0x3f6f5d39, v80
	s_mov_b32 s7, 0x3f62ad3f
	v_fma_f32 v6, v60, s6, -v6
	v_add_f32_e32 v3, v95, v3
	v_mul_f32_e32 v95, 0x3f7e222b, v97
	v_add_f32_e32 v6, v54, v6
	v_fma_f32 v7, v64, s7, -v7
	v_fmac_f32_e32 v62, 0xbe750f2a, v67
	v_mov_b32_e32 v96, v95
	v_add_f32_e32 v6, v7, v6
	v_add_f32_e32 v7, v55, v62
	v_fmac_f32_e32 v88, 0x3eedf032, v68
	s_mov_b32 s10, 0xbf3f9e67
	v_fmac_f32_e32 v96, 0x3df6dbef, v82
	v_add_f32_e32 v7, v88, v7
	v_fma_f32 v62, v70, s10, -v89
	v_fmac_f32_e32 v90, 0xbf29c268, v72
	s_mov_b32 s11, 0x3f116cb1
	v_add_f32_e32 v2, v96, v2
	v_mul_f32_e32 v96, 0x3df6dbef, v98
	v_add_f32_e32 v6, v62, v6
	v_add_f32_e32 v7, v90, v7
	v_fma_f32 v62, v74, s11, -v91
	v_fmac_f32_e32 v92, 0x3f52af12, v76
	s_mov_b32 s12, 0xbeb58ec6
	v_mov_b32_e32 v97, v96
	v_add_f32_e32 v6, v62, v6
	v_add_f32_e32 v7, v92, v7
	v_fma_f32 v62, v78, s12, -v93
	v_fmac_f32_e32 v94, 0xbf6f5d39, v80
	s_mov_b32 s13, 0x3df6dbef
	v_fmac_f32_e32 v97, 0xbf7e222b, v85
	v_add_f32_e32 v6, v62, v6
	v_add_f32_e32 v7, v94, v7
	v_fma_f32 v62, v82, s13, -v95
	v_fmac_f32_e32 v96, 0x3f7e222b, v85
	v_add_f32_e32 v3, v97, v3
	v_add_f32_e32 v6, v62, v6
	;; [unrolled: 1-line block ×3, first 2 shown]
	ds_write2_b64 v10, v[2:3], v[6:7] offset0:6 offset1:7
	v_fma_f32 v2, v60, s12, -v101
	v_add_f32_e32 v2, v54, v2
	v_fma_f32 v3, v64, s10, -v102
	v_add_f32_e32 v2, v3, v2
	;; [unrolled: 2-line block ×6, first 2 shown]
	v_fma_f32 v6, v60, s10, -v113
	v_fmac_f32_e32 v103, 0xbf6f5d39, v67
	v_add_f32_e32 v6, v54, v6
	v_fma_f32 v7, v64, s13, -v114
	v_fmac_f32_e32 v115, 0xbf29c268, v67
	v_add_f32_e32 v3, v55, v103
	v_fmac_f32_e32 v104, 0x3f29c268, v68
	v_add_f32_e32 v6, v7, v6
	v_add_f32_e32 v7, v55, v115
	v_fmac_f32_e32 v116, 0x3f7e222b, v68
	v_add_f32_e32 v3, v104, v3
	v_fmac_f32_e32 v106, 0x3eedf032, v72
	v_add_f32_e32 v7, v116, v7
	v_fma_f32 v62, v70, s11, -v117
	v_fmac_f32_e32 v118, 0xbf52af12, v72
	v_add_f32_e32 v3, v106, v3
	v_fmac_f32_e32 v108, 0xbf7e222b, v76
	v_add_f32_e32 v6, v62, v6
	v_add_f32_e32 v7, v118, v7
	v_fma_f32 v62, v74, s6, -v119
	v_fmac_f32_e32 v120, 0x3e750f2a, v76
	v_add_f32_e32 v3, v108, v3
	v_fmac_f32_e32 v110, 0x3e750f2a, v80
	v_add_f32_e32 v6, v62, v6
	;; [unrolled: 6-line block ×3, first 2 shown]
	v_add_f32_e32 v7, v122, v7
	v_fma_f32 v62, v82, s12, -v123
	v_fmac_f32_e32 v124, 0xbf6f5d39, v85
	v_add_f32_e32 v3, v112, v3
	v_add_f32_e32 v6, v62, v6
	;; [unrolled: 1-line block ×3, first 2 shown]
	ds_write2_b64 v10, v[6:7], v[2:3] offset0:8 offset1:9
	v_fma_f32 v2, v60, s11, -v11
	v_add_f32_e32 v2, v54, v2
	v_fma_f32 v3, v64, s12, -v14
	v_add_f32_e32 v2, v3, v2
	;; [unrolled: 2-line block ×6, first 2 shown]
	v_fma_f32 v6, v60, s13, -v35
	v_fmac_f32_e32 v15, 0xbf52af12, v67
	v_add_f32_e32 v6, v54, v6
	v_fma_f32 v7, v64, s6, -v38
	v_fmac_f32_e32 v39, 0xbf7e222b, v67
	v_add_f32_e32 v3, v55, v15
	v_fmac_f32_e32 v18, 0xbf6f5d39, v68
	v_add_f32_e32 v6, v7, v6
	v_add_f32_e32 v7, v55, v39
	v_fmac_f32_e32 v42, 0xbe750f2a, v68
	v_add_f32_e32 v3, v18, v3
	v_fmac_f32_e32 v22, 0xbe750f2a, v72
	v_add_f32_e32 v7, v42, v7
	v_fma_f32 v11, v70, s12, -v43
	v_fmac_f32_e32 v46, 0x3f6f5d39, v72
	v_add_f32_e32 v3, v22, v3
	v_fmac_f32_e32 v26, 0x3f29c268, v76
	v_add_f32_e32 v6, v11, v6
	v_add_f32_e32 v7, v46, v7
	v_fma_f32 v11, v74, s7, -v47
	v_fmac_f32_e32 v63, 0x3eedf032, v76
	v_add_f32_e32 v3, v26, v3
	v_fmac_f32_e32 v30, 0x3f7e222b, v80
	v_add_f32_e32 v6, v11, v6
	;; [unrolled: 6-line block ×3, first 2 shown]
	v_add_f32_e32 v7, v87, v7
	v_fma_f32 v11, v82, s10, -v99
	v_fmac_f32_e32 v100, 0xbf29c268, v85
	v_add_f32_e32 v3, v34, v3
	v_add_f32_e32 v6, v11, v6
	v_add_f32_e32 v7, v100, v7
	ds_write2_b64 v10, v[6:7], v[2:3] offset0:10 offset1:11
	v_fma_f32 v2, v60, s7, -v61
	v_fmac_f32_e32 v66, 0xbeedf032, v67
	v_add_f32_e32 v2, v54, v2
	v_add_f32_e32 v3, v55, v66
	v_fma_f32 v6, v64, s11, -v65
	v_fmac_f32_e32 v69, 0xbf52af12, v68
	v_add_f32_e32 v2, v6, v2
	v_add_f32_e32 v3, v69, v3
	;; [unrolled: 4-line block ×6, first 2 shown]
	v_cmp_gt_u32_e64 s[0:1], 12, v48
	ds_write_b64 v10, v[2:3] offset:96
	s_and_saveexec_b64 s[4:5], s[0:1]
	s_cbranch_execz .LBB0_15
; %bb.14:
	v_add_f32_e32 v38, v53, v13
	v_mul_f32_e32 v39, 0xbf788fa5, v38
	v_add_f32_e32 v42, v5, v45
	v_sub_f32_e32 v14, v12, v52
	v_mov_b32_e32 v2, v39
	v_mul_f32_e32 v43, 0x3f62ad3f, v42
	v_fmac_f32_e32 v2, 0x3e750f2a, v14
	v_sub_f32_e32 v15, v44, v4
	v_mov_b32_e32 v3, v43
	v_add_f32_e32 v46, v9, v41
	v_add_f32_e32 v2, v1, v2
	v_fmac_f32_e32 v3, 0xbeedf032, v15
	v_mul_f32_e32 v47, 0xbf3f9e67, v46
	v_add_f32_e32 v2, v3, v2
	v_sub_f32_e32 v18, v40, v8
	v_mov_b32_e32 v3, v47
	v_add_f32_e32 v54, v17, v37
	v_fmac_f32_e32 v3, 0x3f29c268, v18
	v_mul_f32_e32 v55, 0x3f116cb1, v54
	v_add_f32_e32 v2, v3, v2
	v_sub_f32_e32 v19, v36, v16
	v_mov_b32_e32 v3, v55
	;; [unrolled: 6-line block ×4, first 2 shown]
	v_sub_f32_e32 v64, v13, v53
	v_fmac_f32_e32 v3, 0xbf7e222b, v23
	v_mul_f32_e32 v65, 0xbe750f2a, v64
	v_sub_f32_e32 v66, v45, v5
	v_add_f32_e32 v3, v3, v2
	v_add_f32_e32 v26, v52, v12
	v_mov_b32_e32 v2, v65
	v_mul_f32_e32 v67, 0x3eedf032, v66
	v_fmac_f32_e32 v2, 0xbf788fa5, v26
	v_add_f32_e32 v27, v4, v44
	v_mov_b32_e32 v6, v67
	v_sub_f32_e32 v68, v41, v9
	v_add_f32_e32 v2, v0, v2
	v_fmac_f32_e32 v6, 0x3f62ad3f, v27
	v_mul_f32_e32 v69, 0xbf29c268, v68
	v_add_f32_e32 v2, v6, v2
	v_add_f32_e32 v30, v8, v40
	v_mov_b32_e32 v6, v69
	v_sub_f32_e32 v70, v37, v17
	v_fmac_f32_e32 v6, 0xbf3f9e67, v30
	v_mul_f32_e32 v71, 0x3f52af12, v70
	v_add_f32_e32 v2, v6, v2
	v_add_f32_e32 v31, v16, v36
	v_mov_b32_e32 v6, v71
	v_sub_f32_e32 v72, v33, v21
	;; [unrolled: 6-line block ×3, first 2 shown]
	v_fmac_f32_e32 v6, 0xbeb58ec6, v34
	v_mul_f32_e32 v75, 0x3f7e222b, v74
	v_add_f32_e32 v2, v6, v2
	v_add_f32_e32 v35, v24, v28
	v_mov_b32_e32 v6, v75
	v_fmac_f32_e32 v6, 0x3df6dbef, v35
	v_mul_f32_e32 v76, 0xbf3f9e67, v38
	v_add_f32_e32 v2, v6, v2
	v_mov_b32_e32 v6, v76
	v_mul_f32_e32 v77, 0x3df6dbef, v42
	v_fmac_f32_e32 v6, 0x3f29c268, v14
	v_mov_b32_e32 v7, v77
	v_add_f32_e32 v6, v1, v6
	v_fmac_f32_e32 v7, 0xbf7e222b, v15
	v_mul_f32_e32 v78, 0x3f116cb1, v46
	v_add_f32_e32 v6, v7, v6
	v_mov_b32_e32 v7, v78
	v_fmac_f32_e32 v7, 0x3f52af12, v18
	v_mul_f32_e32 v79, 0xbf788fa5, v54
	v_add_f32_e32 v6, v7, v6
	v_mov_b32_e32 v7, v79
	v_fmac_f32_e32 v7, 0xbe750f2a, v19
	v_mul_f32_e32 v80, 0x3f62ad3f, v60
	v_add_f32_e32 v6, v7, v6
	v_mov_b32_e32 v7, v80
	v_fmac_f32_e32 v7, 0xbeedf032, v22
	v_mul_f32_e32 v81, 0xbeb58ec6, v62
	v_add_f32_e32 v6, v7, v6
	v_mov_b32_e32 v7, v81
	v_fmac_f32_e32 v7, 0x3f6f5d39, v23
	v_mul_f32_e32 v82, 0xbf29c268, v64
	v_add_f32_e32 v7, v7, v6
	v_mov_b32_e32 v6, v82
	v_mul_f32_e32 v83, 0x3f7e222b, v66
	v_fmac_f32_e32 v6, 0xbf3f9e67, v26
	v_mov_b32_e32 v10, v83
	v_add_f32_e32 v6, v0, v6
	v_fmac_f32_e32 v10, 0x3df6dbef, v27
	v_mul_f32_e32 v84, 0xbf52af12, v68
	v_add_f32_e32 v6, v10, v6
	v_mov_b32_e32 v10, v84
	v_fmac_f32_e32 v10, 0x3f116cb1, v30
	v_mul_f32_e32 v85, 0x3e750f2a, v70
	v_add_f32_e32 v6, v10, v6
	v_mov_b32_e32 v10, v85
	v_fmac_f32_e32 v10, 0xbf788fa5, v31
	v_mul_f32_e32 v86, 0x3eedf032, v72
	v_add_f32_e32 v6, v10, v6
	v_mov_b32_e32 v10, v86
	v_fmac_f32_e32 v10, 0x3f62ad3f, v34
	v_mul_f32_e32 v87, 0xbf6f5d39, v74
	;; [unrolled: 24-line block ×3, first 2 shown]
	v_add_f32_e32 v10, v11, v10
	v_mov_b32_e32 v11, v93
	v_fmac_f32_e32 v11, 0xbf52af12, v23
	v_mul_f32_e32 v94, 0xbf6f5d39, v64
	v_add_f32_e32 v11, v11, v10
	v_mov_b32_e32 v10, v94
	v_mul_f32_e32 v95, 0x3f29c268, v66
	v_fmac_f32_e32 v10, 0xbeb58ec6, v26
	v_mov_b32_e32 v96, v95
	v_add_f32_e32 v10, v0, v10
	v_fmac_f32_e32 v96, 0xbf3f9e67, v27
	v_add_f32_e32 v10, v96, v10
	v_mul_f32_e32 v96, 0x3eedf032, v68
	v_mov_b32_e32 v97, v96
	v_fmac_f32_e32 v97, 0x3f62ad3f, v30
	v_add_f32_e32 v10, v97, v10
	v_mul_f32_e32 v97, 0xbf7e222b, v70
	v_mov_b32_e32 v98, v97
	;; [unrolled: 4-line block ×5, first 2 shown]
	v_mul_f32_e32 v102, 0xbf788fa5, v42
	v_fmac_f32_e32 v101, 0x3f7e222b, v14
	v_mov_b32_e32 v103, v102
	v_add_f32_e32 v101, v1, v101
	v_fmac_f32_e32 v103, 0x3e750f2a, v15
	v_add_f32_e32 v101, v103, v101
	v_mul_f32_e32 v103, 0xbeb58ec6, v46
	v_mov_b32_e32 v104, v103
	v_add_f32_e32 v13, v1, v13
	v_fmac_f32_e32 v104, 0xbf6f5d39, v18
	v_add_f32_e32 v45, v13, v45
	v_add_f32_e32 v101, v104, v101
	v_mul_f32_e32 v104, 0x3f62ad3f, v54
	v_add_f32_e32 v12, v0, v12
	v_mul_f32_e32 v107, 0xbf7e222b, v64
	v_add_f32_e32 v41, v45, v41
	v_mov_b32_e32 v105, v104
	v_add_f32_e32 v12, v12, v44
	v_mov_b32_e32 v13, v107
	v_mul_f32_e32 v44, 0xbe750f2a, v66
	v_add_f32_e32 v37, v41, v37
	v_fmac_f32_e32 v105, 0xbeedf032, v19
	v_fmac_f32_e32 v13, 0x3df6dbef, v26
	v_mov_b32_e32 v108, v44
	v_add_f32_e32 v33, v37, v33
	v_add_f32_e32 v101, v105, v101
	v_mul_f32_e32 v105, 0x3f116cb1, v60
	v_add_f32_e32 v13, v0, v13
	v_fmac_f32_e32 v108, 0xbf788fa5, v27
	v_add_f32_e32 v40, v12, v40
	v_add_f32_e32 v33, v33, v29
	v_mov_b32_e32 v106, v105
	v_add_f32_e32 v13, v108, v13
	v_mul_f32_e32 v108, 0x3f6f5d39, v68
	v_add_f32_e32 v36, v40, v36
	v_add_f32_e32 v33, v33, v25
	v_fmac_f32_e32 v106, 0x3f52af12, v22
	v_mov_b32_e32 v109, v108
	v_add_f32_e32 v32, v36, v32
	v_add_f32_e32 v21, v33, v21
	;; [unrolled: 1-line block ×3, first 2 shown]
	v_mul_f32_e32 v106, 0xbf3f9e67, v62
	v_fmac_f32_e32 v109, 0xbeb58ec6, v30
	v_add_f32_e32 v32, v32, v28
	v_add_f32_e32 v17, v21, v17
	;; [unrolled: 1-line block ×3, first 2 shown]
	v_mov_b32_e32 v13, v106
	v_mul_f32_e32 v45, 0x3eedf032, v70
	v_add_f32_e32 v32, v32, v24
	v_add_f32_e32 v9, v17, v9
	v_fmac_f32_e32 v13, 0x3f29c268, v23
	v_mov_b32_e32 v12, v45
	v_add_f32_e32 v5, v9, v5
	v_add_f32_e32 v9, v32, v20
	;; [unrolled: 1-line block ×3, first 2 shown]
	v_fmac_f32_e32 v12, 0x3f62ad3f, v31
	v_mul_f32_e32 v101, 0xbf52af12, v72
	v_add_f32_e32 v9, v9, v16
	v_add_f32_e32 v12, v12, v109
	v_mov_b32_e32 v109, v101
	v_add_f32_e32 v8, v9, v8
	v_fmac_f32_e32 v39, 0xbe750f2a, v14
	v_fmac_f32_e32 v109, 0x3f116cb1, v34
	v_add_f32_e32 v4, v8, v4
	v_add_f32_e32 v8, v1, v39
	v_fmac_f32_e32 v43, 0x3eedf032, v15
	v_add_f32_e32 v12, v109, v12
	v_mul_f32_e32 v109, 0xbf29c268, v74
	v_add_f32_e32 v8, v43, v8
	v_fmac_f32_e32 v47, 0xbf29c268, v18
	v_mov_b32_e32 v110, v109
	v_add_f32_e32 v8, v47, v8
	v_fmac_f32_e32 v55, 0x3f52af12, v19
	v_fmac_f32_e32 v110, 0xbf3f9e67, v35
	v_add_f32_e32 v8, v55, v8
	v_fmac_f32_e32 v61, 0xbf6f5d39, v22
	v_add_f32_e32 v12, v110, v12
	v_mul_f32_e32 v110, 0x3f116cb1, v38
	v_add_f32_e32 v8, v61, v8
	v_fmac_f32_e32 v63, 0x3f7e222b, v23
	v_mov_b32_e32 v111, v110
	v_mul_f32_e32 v40, 0xbeb58ec6, v42
	v_add_f32_e32 v9, v63, v8
	v_fma_f32 v8, v26, s6, -v65
	v_fmac_f32_e32 v111, 0x3f52af12, v14
	v_mov_b32_e32 v41, v40
	v_add_f32_e32 v8, v0, v8
	v_fma_f32 v16, v27, s7, -v67
	v_add_f32_e32 v111, v1, v111
	v_fmac_f32_e32 v41, 0x3f6f5d39, v15
	v_add_f32_e32 v8, v16, v8
	v_fma_f32 v16, v30, s10, -v69
	v_add_f32_e32 v41, v41, v111
	v_mul_f32_e32 v111, 0xbf788fa5, v46
	v_add_f32_e32 v8, v16, v8
	v_fma_f32 v16, v31, s11, -v71
	v_mov_b32_e32 v112, v111
	v_add_f32_e32 v8, v16, v8
	v_fma_f32 v16, v34, s12, -v73
	v_fmac_f32_e32 v112, 0x3e750f2a, v18
	v_add_f32_e32 v8, v16, v8
	v_fma_f32 v16, v35, s13, -v75
	v_fmac_f32_e32 v76, 0xbf29c268, v14
	v_add_f32_e32 v41, v112, v41
	v_mul_f32_e32 v112, 0xbf3f9e67, v54
	v_add_f32_e32 v8, v16, v8
	v_add_f32_e32 v16, v1, v76
	v_fmac_f32_e32 v77, 0x3f7e222b, v15
	v_mov_b32_e32 v113, v112
	v_add_f32_e32 v16, v77, v16
	v_fmac_f32_e32 v78, 0xbf52af12, v18
	v_fmac_f32_e32 v113, 0xbf29c268, v19
	v_add_f32_e32 v16, v78, v16
	v_fmac_f32_e32 v79, 0x3e750f2a, v19
	v_add_f32_e32 v41, v113, v41
	v_mul_f32_e32 v113, 0x3df6dbef, v60
	v_add_f32_e32 v16, v79, v16
	v_fmac_f32_e32 v80, 0x3eedf032, v22
	v_mov_b32_e32 v114, v113
	v_add_f32_e32 v16, v80, v16
	v_fmac_f32_e32 v81, 0xbf6f5d39, v23
	v_fmac_f32_e32 v114, 0xbf7e222b, v22
	v_mul_f32_e32 v36, 0xbf52af12, v64
	v_mul_f32_e32 v38, 0x3f62ad3f, v38
	v_add_f32_e32 v17, v81, v16
	v_fma_f32 v16, v26, s10, -v82
	v_add_f32_e32 v41, v114, v41
	v_mov_b32_e32 v37, v36
	v_mul_f32_e32 v114, 0xbf6f5d39, v66
	v_mov_b32_e32 v24, v38
	v_mul_f32_e32 v42, 0x3f116cb1, v42
	v_add_f32_e32 v16, v0, v16
	v_fma_f32 v20, v27, s13, -v83
	v_fmac_f32_e32 v37, 0x3f116cb1, v26
	v_mov_b32_e32 v115, v114
	v_mul_f32_e32 v116, 0xbe750f2a, v68
	v_fmac_f32_e32 v24, 0x3eedf032, v14
	v_mov_b32_e32 v25, v42
	v_add_f32_e32 v16, v20, v16
	v_fma_f32 v20, v30, s11, -v84
	v_add_f32_e32 v37, v0, v37
	v_fmac_f32_e32 v115, 0xbeb58ec6, v27
	v_mov_b32_e32 v28, v116
	v_mul_f32_e32 v117, 0x3f29c268, v70
	v_add_f32_e32 v24, v1, v24
	v_fmac_f32_e32 v25, 0x3f52af12, v15
	v_mul_f32_e32 v46, 0x3df6dbef, v46
	v_add_f32_e32 v16, v20, v16
	v_fma_f32 v20, v31, s6, -v85
	v_add_f32_e32 v37, v115, v37
	v_fmac_f32_e32 v28, 0xbf788fa5, v30
	v_mov_b32_e32 v29, v117
	v_add_f32_e32 v24, v25, v24
	v_mov_b32_e32 v25, v46
	v_add_f32_e32 v16, v20, v16
	v_fma_f32 v20, v34, s7, -v86
	v_add_f32_e32 v28, v28, v37
	v_fmac_f32_e32 v29, 0xbf3f9e67, v31
	v_mul_f32_e32 v118, 0x3f7e222b, v72
	v_fmac_f32_e32 v25, 0x3f7e222b, v18
	v_mul_f32_e32 v54, 0xbeb58ec6, v54
	v_add_f32_e32 v16, v20, v16
	v_fma_f32 v20, v35, s12, -v87
	v_fmac_f32_e32 v88, 0xbf6f5d39, v14
	v_add_f32_e32 v28, v29, v28
	v_mov_b32_e32 v29, v118
	v_add_f32_e32 v24, v25, v24
	v_mov_b32_e32 v25, v54
	v_add_f32_e32 v16, v20, v16
	v_add_f32_e32 v20, v1, v88
	v_fmac_f32_e32 v89, 0x3f29c268, v15
	v_mul_f32_e32 v115, 0x3f62ad3f, v62
	v_fmac_f32_e32 v29, 0x3df6dbef, v34
	v_fmac_f32_e32 v25, 0x3f6f5d39, v19
	v_mul_f32_e32 v60, 0xbf3f9e67, v60
	v_add_f32_e32 v20, v89, v20
	v_fmac_f32_e32 v90, 0x3eedf032, v18
	v_add_f32_e32 v28, v29, v28
	v_mov_b32_e32 v29, v115
	v_add_f32_e32 v24, v25, v24
	v_mov_b32_e32 v25, v60
	v_add_f32_e32 v20, v90, v20
	v_fmac_f32_e32 v91, 0xbf7e222b, v19
	v_fmac_f32_e32 v29, 0xbeedf032, v23
	;; [unrolled: 1-line block ×3, first 2 shown]
	v_mul_f32_e32 v62, 0xbf788fa5, v62
	v_add_f32_e32 v20, v91, v20
	v_fmac_f32_e32 v92, 0x3e750f2a, v22
	v_add_f32_e32 v29, v29, v41
	v_mul_f32_e32 v41, 0x3eedf032, v74
	v_add_f32_e32 v24, v25, v24
	v_mov_b32_e32 v25, v62
	v_add_f32_e32 v20, v92, v20
	v_fmac_f32_e32 v93, 0x3f52af12, v23
	v_mov_b32_e32 v37, v41
	v_fmac_f32_e32 v25, 0x3e750f2a, v23
	v_mul_f32_e32 v64, 0xbeedf032, v64
	v_add_f32_e32 v21, v93, v20
	v_fma_f32 v20, v26, s12, -v94
	v_fmac_f32_e32 v37, 0x3f62ad3f, v35
	v_add_f32_e32 v25, v25, v24
	v_mov_b32_e32 v24, v64
	v_mul_f32_e32 v66, 0xbf52af12, v66
	v_add_f32_e32 v20, v0, v20
	v_fma_f32 v32, v27, s10, -v95
	v_add_f32_e32 v28, v37, v28
	v_fmac_f32_e32 v24, 0x3f62ad3f, v26
	v_mov_b32_e32 v37, v66
	v_add_f32_e32 v20, v32, v20
	v_fma_f32 v32, v30, s7, -v96
	v_add_f32_e32 v24, v0, v24
	v_fmac_f32_e32 v37, 0x3f116cb1, v27
	v_mul_f32_e32 v68, 0xbf7e222b, v68
	v_add_f32_e32 v20, v32, v20
	v_fma_f32 v32, v31, s13, -v97
	v_add_f32_e32 v24, v37, v24
	v_mov_b32_e32 v37, v68
	v_add_f32_e32 v20, v32, v20
	v_fma_f32 v32, v34, s6, -v98
	v_fmac_f32_e32 v37, 0x3df6dbef, v30
	v_mul_f32_e32 v70, 0xbf6f5d39, v70
	v_add_f32_e32 v20, v32, v20
	v_fma_f32 v32, v35, s11, -v99
	v_fmac_f32_e32 v100, 0xbf7e222b, v14
	v_add_f32_e32 v24, v37, v24
	v_mov_b32_e32 v37, v70
	v_add_f32_e32 v20, v32, v20
	v_add_f32_e32 v32, v1, v100
	v_fmac_f32_e32 v102, 0xbe750f2a, v15
	v_fmac_f32_e32 v37, 0xbeb58ec6, v31
	v_mul_f32_e32 v72, 0xbf29c268, v72
	v_add_f32_e32 v32, v102, v32
	v_fmac_f32_e32 v103, 0x3f6f5d39, v18
	v_add_f32_e32 v24, v37, v24
	v_mov_b32_e32 v37, v72
	v_add_f32_e32 v32, v103, v32
	v_fmac_f32_e32 v104, 0x3eedf032, v19
	v_fmac_f32_e32 v37, 0xbf3f9e67, v34
	v_mul_f32_e32 v74, 0xbe750f2a, v74
	v_add_f32_e32 v32, v104, v32
	v_fmac_f32_e32 v105, 0xbf52af12, v22
	v_add_f32_e32 v24, v37, v24
	v_mov_b32_e32 v37, v74
	v_add_f32_e32 v32, v105, v32
	v_fmac_f32_e32 v106, 0xbf29c268, v23
	v_fmac_f32_e32 v37, 0xbf788fa5, v35
	v_add_f32_e32 v33, v106, v32
	v_fma_f32 v32, v26, s13, -v107
	v_add_f32_e32 v24, v37, v24
	v_add_f32_e32 v32, v0, v32
	v_fma_f32 v37, v27, s6, -v44
	v_add_f32_e32 v32, v37, v32
	v_fma_f32 v37, v30, s12, -v108
	;; [unrolled: 2-line block ×3, first 2 shown]
	v_fmac_f32_e32 v110, 0xbf52af12, v14
	v_fma_f32 v36, v26, s11, -v36
	v_fmac_f32_e32 v38, 0xbeedf032, v14
	v_fma_f32 v14, v26, s7, -v64
	v_add_f32_e32 v32, v37, v32
	v_fma_f32 v37, v34, s11, -v101
	v_add_f32_e32 v36, v0, v36
	v_add_f32_e32 v0, v0, v14
	v_fma_f32 v14, v27, s11, -v66
	v_add_f32_e32 v32, v37, v32
	v_fma_f32 v37, v35, s10, -v109
	;; [unrolled: 2-line block ×3, first 2 shown]
	v_add_f32_e32 v32, v37, v32
	v_add_f32_e32 v37, v1, v110
	v_fmac_f32_e32 v40, 0xbf6f5d39, v15
	v_fma_f32 v39, v27, s12, -v114
	v_add_f32_e32 v1, v1, v38
	v_fmac_f32_e32 v42, 0xbf52af12, v15
	v_add_f32_e32 v0, v14, v0
	v_fma_f32 v14, v31, s12, -v70
	v_add_f32_e32 v37, v40, v37
	v_fmac_f32_e32 v111, 0xbe750f2a, v18
	v_add_f32_e32 v36, v39, v36
	;; [unrolled: 4-line block ×7, first 2 shown]
	v_mul_i32_i24_e32 v14, 0x68, v58
	v_add_f32_e32 v5, v5, v53
	v_add_f32_e32 v4, v4, v52
	v_add_f32_e32 v37, v113, v37
	v_fmac_f32_e32 v115, 0x3eedf032, v23
	v_add_f32_e32 v36, v39, v36
	v_fma_f32 v39, v35, s7, -v41
	v_add_f32_e32 v1, v60, v1
	v_fmac_f32_e32 v62, 0xbe750f2a, v23
	v_add3_u32 v14, 0, v14, v59
	v_add_f32_e32 v37, v115, v37
	v_add_f32_e32 v36, v39, v36
	;; [unrolled: 1-line block ×3, first 2 shown]
	ds_write2_b64 v14, v[4:5], v[24:25] offset1:1
	ds_write2_b64 v14, v[28:29], v[12:13] offset0:2 offset1:3
	ds_write2_b64 v14, v[10:11], v[6:7] offset0:4 offset1:5
	;; [unrolled: 1-line block ×5, first 2 shown]
	ds_write_b64 v14, v[0:1] offset:96
.LBB0_15:
	s_or_b64 exec, exec, s[4:5]
	v_lshlrev_b32_e32 v7, 2, v48
	v_mov_b32_e32 v8, 0
	v_lshlrev_b64 v[0:1], 3, v[7:8]
	v_mov_b32_e32 v16, s9
	v_add_co_u32_e64 v9, s[0:1], s8, v0
	v_addc_co_u32_e64 v10, s[0:1], v16, v1, s[0:1]
	v_add_u32_e32 v17, 26, v48
	s_movk_i32 s0, 0x4f
	v_mul_lo_u16_sdwa v1, v17, s0 dst_sel:DWORD dst_unused:UNUSED_PAD src0_sel:BYTE_0 src1_sel:DWORD
	v_lshrrev_b16_e32 v1, 10, v1
	v_mul_lo_u16_e32 v1, 13, v1
	v_mov_b32_e32 v0, 5
	v_sub_u16_e32 v20, v17, v1
	v_lshlrev_b32_sdwa v1, v0, v20 dst_sel:DWORD dst_unused:UNUSED_PAD src0_sel:DWORD src1_sel:BYTE_0
	v_add_u32_e32 v19, 39, v48
	s_waitcnt lgkmcnt(0)
	; wave barrier
	s_waitcnt lgkmcnt(0)
	global_load_dwordx4 v[23:26], v[9:10], off
	global_load_dwordx4 v[27:30], v[9:10], off offset:16
	global_load_dwordx4 v[31:34], v1, s[8:9]
	global_load_dwordx4 v[35:38], v1, s[8:9] offset:16
	v_mul_lo_u16_sdwa v1, v19, s0 dst_sel:DWORD dst_unused:UNUSED_PAD src0_sel:BYTE_0 src1_sel:DWORD
	v_lshrrev_b16_e32 v1, 10, v1
	v_mul_lo_u16_e32 v1, 13, v1
	v_sub_u16_e32 v21, v19, v1
	v_lshlrev_b32_sdwa v1, v0, v21 dst_sel:DWORD dst_unused:UNUSED_PAD src0_sel:DWORD src1_sel:BYTE_0
	v_add_u32_e32 v18, 52, v48
	global_load_dwordx4 v[39:42], v1, s[8:9]
	global_load_dwordx4 v[43:46], v1, s[8:9] offset:16
	v_mul_lo_u16_sdwa v1, v18, s0 dst_sel:DWORD dst_unused:UNUSED_PAD src0_sel:BYTE_0 src1_sel:DWORD
	v_lshrrev_b16_e32 v1, 10, v1
	v_mul_lo_u16_e32 v1, 13, v1
	v_sub_u16_e32 v22, v18, v1
	v_lshlrev_b32_sdwa v0, v0, v22 dst_sel:DWORD dst_unused:UNUSED_PAD src0_sel:DWORD src1_sel:BYTE_0
	ds_read_b64 v[11:12], v56
	global_load_dwordx4 v[52:55], v0, s[8:9] offset:16
	global_load_dwordx4 v[60:63], v0, s[8:9]
	ds_read2_b64 v[0:3], v49 offset0:52 offset1:65
	ds_read2_b64 v[64:67], v49 offset0:130 offset1:143
	;; [unrolled: 1-line block ×11, first 2 shown]
	v_lshlrev_b32_e32 v13, 3, v58
	v_add3_u32 v15, 0, v13, v59
	ds_read_b64 v[13:14], v15
	ds_read_b64 v[100:101], v49 offset:2496
	s_waitcnt lgkmcnt(0)
	; wave barrier
	s_waitcnt vmcnt(7) lgkmcnt(0)
	v_mul_f32_e32 v47, v3, v24
	v_mul_f32_e32 v102, v2, v24
	s_waitcnt vmcnt(6)
	v_mul_f32_e32 v112, v75, v30
	v_fmac_f32_e32 v47, v2, v23
	s_waitcnt vmcnt(5)
	v_mul_f32_e32 v2, v78, v32
	v_mul_f32_e32 v105, v71, v28
	;; [unrolled: 1-line block ×6, first 2 shown]
	v_fmac_f32_e32 v112, v74, v29
	v_fma_f32 v74, v79, v31, -v2
	v_mul_f32_e32 v2, v84, v34
	v_mul_f32_e32 v106, v70, v28
	;; [unrolled: 1-line block ×3, first 2 shown]
	v_fmac_f32_e32 v105, v70, v27
	v_fma_f32 v70, v73, v29, -v108
	v_fmac_f32_e32 v109, v76, v23
	v_mul_f32_e32 v73, v79, v32
	v_fma_f32 v76, v85, v33, -v2
	s_waitcnt vmcnt(4)
	v_mul_f32_e32 v2, v82, v36
	v_mul_f32_e32 v103, v65, v26
	;; [unrolled: 1-line block ×4, first 2 shown]
	v_fmac_f32_e32 v73, v78, v31
	v_fma_f32 v78, v83, v35, -v2
	v_mul_f32_e32 v2, v88, v38
	v_mul_f32_e32 v28, v80, v28
	v_fmac_f32_e32 v103, v64, v25
	v_fma_f32 v64, v65, v25, -v104
	v_fma_f32 v65, v71, v27, -v106
	;; [unrolled: 1-line block ×3, first 2 shown]
	v_fmac_f32_e32 v111, v80, v27
	v_mul_f32_e32 v77, v83, v36
	v_fma_f32 v80, v89, v37, -v2
	s_waitcnt vmcnt(3)
	v_mul_f32_e32 v2, v92, v40
	v_fmac_f32_e32 v107, v72, v29
	v_fma_f32 v72, v75, v29, -v30
	v_mul_f32_e32 v75, v85, v34
	v_fmac_f32_e32 v77, v82, v35
	v_fma_f32 v82, v93, v39, -v2
	v_mul_f32_e32 v2, v86, v42
	v_fma_f32 v102, v3, v23, -v102
	v_fmac_f32_e32 v75, v84, v33
	v_mul_f32_e32 v83, v87, v42
	v_fma_f32 v84, v87, v41, -v2
	s_waitcnt vmcnt(2)
	v_mul_f32_e32 v2, v96, v44
	v_add_f32_e32 v3, v103, v105
	v_mul_f32_e32 v110, v67, v26
	v_mul_f32_e32 v26, v66, v26
	;; [unrolled: 1-line block ×3, first 2 shown]
	v_fmac_f32_e32 v83, v86, v41
	v_fma_f32 v86, v97, v43, -v2
	v_mul_f32_e32 v2, v90, v46
	v_fma_f32 v23, -0.5, v3, v11
	v_fmac_f32_e32 v110, v66, v25
	v_fma_f32 v66, v67, v25, -v26
	v_fmac_f32_e32 v79, v88, v37
	v_mul_f32_e32 v87, v91, v46
	v_fma_f32 v88, v91, v45, -v2
	s_waitcnt vmcnt(0)
	v_mul_f32_e32 v2, v94, v61
	v_sub_f32_e32 v3, v102, v70
	v_mov_b32_e32 v25, v23
	v_fma_f32 v67, v81, v27, -v28
	v_mul_f32_e32 v81, v93, v40
	v_fmac_f32_e32 v87, v90, v45
	v_fma_f32 v90, v95, v60, -v2
	v_mul_f32_e32 v2, v68, v63
	v_fmac_f32_e32 v25, 0xbf737871, v3
	v_sub_f32_e32 v24, v64, v65
	v_sub_f32_e32 v26, v47, v103
	;; [unrolled: 1-line block ×3, first 2 shown]
	v_fmac_f32_e32 v23, 0x3f737871, v3
	v_fmac_f32_e32 v81, v92, v39
	v_fma_f32 v92, v69, v62, -v2
	v_mul_f32_e32 v2, v98, v53
	v_fmac_f32_e32 v25, 0xbf167918, v24
	v_add_f32_e32 v26, v26, v27
	v_fmac_f32_e32 v23, 0x3f167918, v24
	v_fma_f32 v93, v99, v52, -v2
	v_mul_f32_e32 v2, v100, v55
	v_fmac_f32_e32 v25, 0x3e9e377a, v26
	v_fmac_f32_e32 v23, 0x3e9e377a, v26
	v_add_f32_e32 v26, v47, v107
	v_mul_f32_e32 v89, v95, v61
	v_fma_f32 v95, v101, v54, -v2
	v_add_f32_e32 v2, v11, v47
	v_fma_f32 v11, -0.5, v26, v11
	v_mov_b32_e32 v27, v11
	v_fmac_f32_e32 v27, 0x3f737871, v24
	v_sub_f32_e32 v26, v103, v47
	v_sub_f32_e32 v28, v105, v107
	v_fmac_f32_e32 v11, 0xbf737871, v24
	v_add_f32_e32 v24, v64, v65
	v_fmac_f32_e32 v27, 0xbf167918, v3
	v_add_f32_e32 v26, v26, v28
	v_fmac_f32_e32 v11, 0x3f167918, v3
	v_fma_f32 v24, -0.5, v24, v12
	v_fmac_f32_e32 v27, 0x3e9e377a, v26
	v_fmac_f32_e32 v11, 0x3e9e377a, v26
	v_sub_f32_e32 v29, v47, v107
	v_mov_b32_e32 v26, v24
	v_fmac_f32_e32 v26, 0x3f737871, v29
	v_sub_f32_e32 v30, v103, v105
	v_sub_f32_e32 v28, v102, v64
	;; [unrolled: 1-line block ×3, first 2 shown]
	v_fmac_f32_e32 v24, 0xbf737871, v29
	v_fmac_f32_e32 v26, 0x3f167918, v30
	v_add_f32_e32 v28, v28, v31
	v_fmac_f32_e32 v24, 0xbf167918, v30
	v_fmac_f32_e32 v26, 0x3e9e377a, v28
	;; [unrolled: 1-line block ×3, first 2 shown]
	v_add_f32_e32 v28, v102, v70
	v_add_f32_e32 v3, v12, v102
	v_fmac_f32_e32 v12, -0.5, v28
	v_mov_b32_e32 v28, v12
	v_fmac_f32_e32 v28, 0xbf737871, v30
	v_sub_f32_e32 v31, v64, v102
	v_sub_f32_e32 v32, v65, v70
	v_fmac_f32_e32 v12, 0x3f737871, v30
	v_fmac_f32_e32 v28, 0x3f167918, v29
	v_add_f32_e32 v31, v31, v32
	v_fmac_f32_e32 v12, 0xbf167918, v29
	v_add_f32_e32 v30, v110, v111
	v_fmac_f32_e32 v28, 0x3e9e377a, v31
	v_fmac_f32_e32 v12, 0x3e9e377a, v31
	v_fma_f32 v31, -0.5, v30, v13
	v_sub_f32_e32 v30, v71, v72
	v_mov_b32_e32 v33, v31
	v_fmac_f32_e32 v33, 0xbf737871, v30
	v_sub_f32_e32 v32, v66, v67
	v_sub_f32_e32 v34, v109, v110
	;; [unrolled: 1-line block ×3, first 2 shown]
	v_fmac_f32_e32 v31, 0x3f737871, v30
	v_fmac_f32_e32 v33, 0xbf167918, v32
	v_add_f32_e32 v34, v34, v35
	v_fmac_f32_e32 v31, 0x3f167918, v32
	v_fmac_f32_e32 v33, 0x3e9e377a, v34
	;; [unrolled: 1-line block ×3, first 2 shown]
	v_add_f32_e32 v34, v109, v112
	v_add_f32_e32 v29, v13, v109
	v_fma_f32 v13, -0.5, v34, v13
	v_mov_b32_e32 v35, v13
	v_fmac_f32_e32 v35, 0x3f737871, v32
	v_sub_f32_e32 v34, v110, v109
	v_sub_f32_e32 v36, v111, v112
	v_fmac_f32_e32 v13, 0xbf737871, v32
	v_add_f32_e32 v32, v66, v67
	v_fmac_f32_e32 v35, 0xbf167918, v30
	v_add_f32_e32 v34, v34, v36
	v_fmac_f32_e32 v13, 0x3f167918, v30
	v_fma_f32 v32, -0.5, v32, v14
	v_fmac_f32_e32 v35, 0x3e9e377a, v34
	v_fmac_f32_e32 v13, 0x3e9e377a, v34
	v_sub_f32_e32 v37, v109, v112
	v_mov_b32_e32 v34, v32
	v_fmac_f32_e32 v34, 0x3f737871, v37
	v_sub_f32_e32 v38, v110, v111
	v_sub_f32_e32 v36, v71, v66
	;; [unrolled: 1-line block ×3, first 2 shown]
	v_fmac_f32_e32 v32, 0xbf737871, v37
	v_fmac_f32_e32 v34, 0x3f167918, v38
	v_add_f32_e32 v36, v36, v39
	v_fmac_f32_e32 v32, 0xbf167918, v38
	v_fmac_f32_e32 v34, 0x3e9e377a, v36
	;; [unrolled: 1-line block ×3, first 2 shown]
	v_add_f32_e32 v36, v71, v72
	v_add_f32_e32 v30, v14, v71
	v_fmac_f32_e32 v14, -0.5, v36
	v_mov_b32_e32 v36, v14
	v_fmac_f32_e32 v36, 0xbf737871, v38
	v_sub_f32_e32 v39, v66, v71
	v_sub_f32_e32 v40, v67, v72
	v_fmac_f32_e32 v14, 0x3f737871, v38
	v_fmac_f32_e32 v36, 0x3f167918, v37
	v_add_f32_e32 v39, v39, v40
	v_fmac_f32_e32 v14, 0xbf167918, v37
	v_add_f32_e32 v38, v75, v77
	v_fmac_f32_e32 v36, 0x3e9e377a, v39
	v_fmac_f32_e32 v14, 0x3e9e377a, v39
	v_fma_f32 v39, -0.5, v38, v4
	v_mul_f32_e32 v85, v97, v44
	v_sub_f32_e32 v38, v74, v80
	v_mov_b32_e32 v41, v39
	v_fmac_f32_e32 v85, v96, v43
	v_fmac_f32_e32 v41, 0xbf737871, v38
	v_sub_f32_e32 v40, v76, v78
	v_sub_f32_e32 v42, v73, v75
	v_sub_f32_e32 v43, v79, v77
	v_fmac_f32_e32 v39, 0x3f737871, v38
	v_fmac_f32_e32 v41, 0xbf167918, v40
	v_add_f32_e32 v42, v42, v43
	v_fmac_f32_e32 v39, 0x3f167918, v40
	v_fmac_f32_e32 v41, 0x3e9e377a, v42
	v_fmac_f32_e32 v39, 0x3e9e377a, v42
	v_add_f32_e32 v42, v73, v79
	v_add_f32_e32 v37, v4, v73
	v_fma_f32 v4, -0.5, v42, v4
	v_mov_b32_e32 v43, v4
	v_fmac_f32_e32 v43, 0x3f737871, v40
	v_sub_f32_e32 v42, v75, v73
	v_sub_f32_e32 v44, v77, v79
	v_fmac_f32_e32 v4, 0xbf737871, v40
	v_add_f32_e32 v40, v76, v78
	v_fmac_f32_e32 v43, 0xbf167918, v38
	v_add_f32_e32 v42, v42, v44
	v_fmac_f32_e32 v4, 0x3f167918, v38
	v_fma_f32 v40, -0.5, v40, v5
	v_fmac_f32_e32 v43, 0x3e9e377a, v42
	v_fmac_f32_e32 v4, 0x3e9e377a, v42
	v_sub_f32_e32 v45, v73, v79
	v_mov_b32_e32 v42, v40
	v_fmac_f32_e32 v42, 0x3f737871, v45
	v_sub_f32_e32 v46, v75, v77
	v_sub_f32_e32 v44, v74, v76
	;; [unrolled: 1-line block ×3, first 2 shown]
	v_fmac_f32_e32 v40, 0xbf737871, v45
	v_fmac_f32_e32 v42, 0x3f167918, v46
	v_add_f32_e32 v44, v44, v47
	v_fmac_f32_e32 v40, 0xbf167918, v46
	v_fmac_f32_e32 v42, 0x3e9e377a, v44
	v_fmac_f32_e32 v40, 0x3e9e377a, v44
	v_add_f32_e32 v44, v74, v80
	v_add_f32_e32 v38, v5, v74
	v_fma_f32 v5, -0.5, v44, v5
	v_mul_f32_e32 v91, v69, v63
	v_mul_f32_e32 v69, v99, v53
	v_mov_b32_e32 v44, v5
	v_fmac_f32_e32 v69, v98, v52
	v_fmac_f32_e32 v44, 0xbf737871, v46
	v_sub_f32_e32 v47, v76, v74
	v_sub_f32_e32 v52, v78, v80
	v_fmac_f32_e32 v5, 0x3f737871, v46
	v_add_f32_e32 v46, v83, v85
	v_fmac_f32_e32 v89, v94, v60
	v_mul_f32_e32 v94, v101, v55
	v_add_f32_e32 v47, v47, v52
	v_fma_f32 v52, -0.5, v46, v6
	v_fmac_f32_e32 v94, v100, v54
	v_fmac_f32_e32 v44, 0x3f167918, v45
	;; [unrolled: 1-line block ×3, first 2 shown]
	v_sub_f32_e32 v46, v82, v88
	v_mov_b32_e32 v54, v52
	v_fmac_f32_e32 v44, 0x3e9e377a, v47
	v_fmac_f32_e32 v5, 0x3e9e377a, v47
	v_fmac_f32_e32 v54, 0xbf737871, v46
	v_sub_f32_e32 v47, v84, v86
	v_sub_f32_e32 v53, v81, v83
	v_sub_f32_e32 v55, v87, v85
	v_fmac_f32_e32 v52, 0x3f737871, v46
	v_fmac_f32_e32 v54, 0xbf167918, v47
	v_add_f32_e32 v53, v53, v55
	v_fmac_f32_e32 v52, 0x3f167918, v47
	v_fmac_f32_e32 v54, 0x3e9e377a, v53
	;; [unrolled: 1-line block ×3, first 2 shown]
	v_add_f32_e32 v53, v81, v87
	v_add_f32_e32 v45, v6, v81
	v_fma_f32 v6, -0.5, v53, v6
	v_mov_b32_e32 v60, v6
	v_fmac_f32_e32 v60, 0x3f737871, v47
	v_sub_f32_e32 v53, v83, v81
	v_sub_f32_e32 v55, v85, v87
	v_fmac_f32_e32 v6, 0xbf737871, v47
	v_fmac_f32_e32 v60, 0xbf167918, v46
	v_add_f32_e32 v53, v53, v55
	v_fmac_f32_e32 v6, 0x3f167918, v46
	v_add_f32_e32 v47, v84, v86
	v_fmac_f32_e32 v60, 0x3e9e377a, v53
	v_fmac_f32_e32 v6, 0x3e9e377a, v53
	v_fma_f32 v53, -0.5, v47, v7
	v_sub_f32_e32 v47, v81, v87
	v_mov_b32_e32 v55, v53
	v_fmac_f32_e32 v91, v68, v62
	v_fmac_f32_e32 v55, 0x3f737871, v47
	v_sub_f32_e32 v62, v83, v85
	v_sub_f32_e32 v61, v82, v84
	;; [unrolled: 1-line block ×3, first 2 shown]
	v_fmac_f32_e32 v53, 0xbf737871, v47
	v_fmac_f32_e32 v55, 0x3f167918, v62
	v_add_f32_e32 v61, v61, v63
	v_fmac_f32_e32 v53, 0xbf167918, v62
	v_fmac_f32_e32 v55, 0x3e9e377a, v61
	;; [unrolled: 1-line block ×3, first 2 shown]
	v_add_f32_e32 v61, v82, v88
	v_add_f32_e32 v46, v7, v82
	v_fmac_f32_e32 v7, -0.5, v61
	v_mov_b32_e32 v61, v7
	v_fmac_f32_e32 v61, 0xbf737871, v62
	v_fmac_f32_e32 v7, 0x3f737871, v62
	v_fmac_f32_e32 v61, 0x3f167918, v47
	v_fmac_f32_e32 v7, 0xbf167918, v47
	v_add_f32_e32 v47, v0, v89
	v_add_f32_e32 v47, v47, v91
	;; [unrolled: 1-line block ×4, first 2 shown]
	v_sub_f32_e32 v63, v84, v82
	v_sub_f32_e32 v64, v86, v88
	v_add_f32_e32 v62, v47, v94
	v_add_f32_e32 v47, v91, v69
	;; [unrolled: 1-line block ×3, first 2 shown]
	v_fma_f32 v64, -0.5, v47, v0
	v_add_f32_e32 v30, v30, v66
	v_sub_f32_e32 v47, v90, v95
	v_mov_b32_e32 v66, v64
	v_add_f32_e32 v3, v3, v65
	v_add_f32_e32 v30, v30, v67
	v_fmac_f32_e32 v61, 0x3e9e377a, v63
	v_fmac_f32_e32 v7, 0x3e9e377a, v63
	;; [unrolled: 1-line block ×3, first 2 shown]
	v_sub_f32_e32 v63, v92, v93
	v_sub_f32_e32 v65, v89, v91
	;; [unrolled: 1-line block ×3, first 2 shown]
	v_fmac_f32_e32 v64, 0x3f737871, v47
	v_fmac_f32_e32 v66, 0xbf167918, v63
	v_add_f32_e32 v65, v65, v67
	v_fmac_f32_e32 v64, 0x3f167918, v63
	v_fmac_f32_e32 v66, 0x3e9e377a, v65
	;; [unrolled: 1-line block ×3, first 2 shown]
	v_add_f32_e32 v65, v89, v94
	v_fma_f32 v0, -0.5, v65, v0
	v_mov_b32_e32 v68, v0
	v_fmac_f32_e32 v68, 0x3f737871, v63
	v_fmac_f32_e32 v0, 0xbf737871, v63
	;; [unrolled: 1-line block ×4, first 2 shown]
	v_add_f32_e32 v47, v1, v90
	v_add_f32_e32 v47, v47, v92
	v_sub_f32_e32 v65, v91, v89
	v_sub_f32_e32 v67, v69, v94
	v_add_f32_e32 v47, v47, v93
	v_add_f32_e32 v65, v65, v67
	;; [unrolled: 1-line block ×5, first 2 shown]
	v_fmac_f32_e32 v68, 0x3e9e377a, v65
	v_fmac_f32_e32 v0, 0x3e9e377a, v65
	v_fma_f32 v65, -0.5, v47, v1
	v_add_f32_e32 v2, v2, v105
	v_add_f32_e32 v29, v29, v110
	v_sub_f32_e32 v47, v89, v94
	v_mov_b32_e32 v67, v65
	v_add_f32_e32 v2, v2, v107
	v_add_f32_e32 v3, v3, v70
	;; [unrolled: 1-line block ×3, first 2 shown]
	v_fmac_f32_e32 v67, 0x3f737871, v47
	v_sub_f32_e32 v70, v91, v69
	v_sub_f32_e32 v69, v90, v92
	v_sub_f32_e32 v71, v95, v93
	v_fmac_f32_e32 v65, 0xbf737871, v47
	v_add_f32_e32 v29, v29, v112
	v_add_f32_e32 v30, v30, v72
	;; [unrolled: 1-line block ×4, first 2 shown]
	v_fmac_f32_e32 v67, 0x3f167918, v70
	v_add_f32_e32 v69, v69, v71
	v_fmac_f32_e32 v65, 0xbf167918, v70
	ds_write2_b64 v49, v[2:3], v[25:26] offset1:13
	ds_write2_b64 v49, v[27:28], v[11:12] offset0:26 offset1:39
	ds_write2_b64 v49, v[23:24], v[29:30] offset0:52 offset1:65
	ds_write2_b64 v49, v[33:34], v[35:36] offset0:78 offset1:91
	ds_write2_b64 v49, v[13:14], v[31:32] offset0:104 offset1:117
	v_mov_b32_e32 v2, 3
	v_add_f32_e32 v37, v37, v77
	v_add_f32_e32 v38, v38, v78
	v_fmac_f32_e32 v67, 0x3e9e377a, v69
	v_fmac_f32_e32 v65, 0x3e9e377a, v69
	v_add_f32_e32 v69, v90, v95
	v_lshlrev_b32_sdwa v3, v2, v20 dst_sel:DWORD dst_unused:UNUSED_PAD src0_sel:DWORD src1_sel:BYTE_0
	v_add_f32_e32 v37, v37, v79
	v_add_f32_e32 v38, v38, v80
	;; [unrolled: 1-line block ×4, first 2 shown]
	v_fmac_f32_e32 v1, -0.5, v69
	v_add3_u32 v3, 0, v3, v59
	v_add_f32_e32 v45, v45, v85
	v_add_f32_e32 v46, v46, v86
	v_mov_b32_e32 v69, v1
	ds_write2_b64 v3, v[37:38], v[41:42] offset0:130 offset1:143
	ds_write2_b64 v3, v[43:44], v[4:5] offset0:156 offset1:169
	ds_write_b64 v3, v[39:40] offset:1456
	v_lshlrev_b32_sdwa v3, v2, v21 dst_sel:DWORD dst_unused:UNUSED_PAD src0_sel:DWORD src1_sel:BYTE_0
	v_lshlrev_b32_sdwa v2, v2, v22 dst_sel:DWORD dst_unused:UNUSED_PAD src0_sel:DWORD src1_sel:BYTE_0
	v_add_f32_e32 v45, v45, v87
	v_add_f32_e32 v46, v46, v88
	v_fmac_f32_e32 v69, 0xbf737871, v70
	v_sub_f32_e32 v71, v92, v90
	v_sub_f32_e32 v72, v93, v95
	v_fmac_f32_e32 v1, 0x3f737871, v70
	v_add3_u32 v3, 0, v3, v59
	v_add3_u32 v2, 0, v2, v59
	v_fmac_f32_e32 v69, 0x3f167918, v47
	v_add_f32_e32 v71, v71, v72
	v_fmac_f32_e32 v1, 0xbf167918, v47
	ds_write2_b64 v3, v[45:46], v[54:55] offset0:195 offset1:208
	ds_write2_b64 v3, v[60:61], v[6:7] offset0:221 offset1:234
	ds_write_b64 v3, v[52:53] offset:1976
	v_add_u32_e32 v3, 0x800, v2
	v_fmac_f32_e32 v69, 0x3e9e377a, v71
	v_fmac_f32_e32 v1, 0x3e9e377a, v71
	ds_write2_b64 v3, v[62:63], v[66:67] offset0:4 offset1:17
	ds_write2_b64 v3, v[68:69], v[0:1] offset0:30 offset1:43
	ds_write_b64 v2, v[64:65] offset:2496
	s_waitcnt lgkmcnt(0)
	; wave barrier
	s_waitcnt lgkmcnt(0)
	global_load_dwordx4 v[20:23], v[9:10], off offset:416
	global_load_dwordx4 v[24:27], v[9:10], off offset:432
	v_lshlrev_b32_e32 v7, 2, v58
	v_lshlrev_b64 v[0:1], 3, v[7:8]
	v_lshlrev_b32_e32 v7, 2, v17
	v_add_co_u32_e64 v0, s[0:1], s8, v0
	v_addc_co_u32_e64 v1, s[0:1], v16, v1, s[0:1]
	global_load_dwordx4 v[28:31], v[0:1], off offset:416
	global_load_dwordx4 v[32:35], v[0:1], off offset:432
	v_lshlrev_b64 v[0:1], 3, v[7:8]
	v_lshlrev_b32_e32 v7, 2, v19
	v_add_co_u32_e64 v0, s[0:1], s8, v0
	v_addc_co_u32_e64 v1, s[0:1], v16, v1, s[0:1]
	global_load_dwordx4 v[36:39], v[0:1], off offset:416
	global_load_dwordx4 v[40:43], v[0:1], off offset:432
	;; [unrolled: 6-line block ×3, first 2 shown]
	v_lshlrev_b64 v[0:1], 3, v[7:8]
	v_add_co_u32_e64 v0, s[0:1], s8, v0
	v_addc_co_u32_e64 v1, s[0:1], v16, v1, s[0:1]
	global_load_dwordx4 v[16:19], v[0:1], off offset:416
	global_load_dwordx4 v[58:61], v[0:1], off offset:432
	ds_read_b64 v[11:12], v56
	ds_read2_b64 v[0:3], v49 offset0:52 offset1:65
	ds_read2_b64 v[62:65], v49 offset0:130 offset1:143
	;; [unrolled: 1-line block ×11, first 2 shown]
	ds_read_b64 v[9:10], v15
	ds_read_b64 v[13:14], v49 offset:2496
	s_waitcnt lgkmcnt(0)
	; wave barrier
	s_waitcnt vmcnt(9) lgkmcnt(0)
	v_mul_f32_e32 v98, v21, v3
	v_fmac_f32_e32 v98, v20, v2
	v_mul_f32_e32 v2, v21, v2
	v_fma_f32 v20, v20, v3, -v2
	v_mul_f32_e32 v21, v23, v63
	v_mul_f32_e32 v2, v23, v62
	v_fmac_f32_e32 v21, v22, v62
	v_fma_f32 v22, v22, v63, -v2
	s_waitcnt vmcnt(8)
	v_mul_f32_e32 v23, v25, v69
	v_mul_f32_e32 v2, v25, v68
	v_fmac_f32_e32 v23, v24, v68
	v_fma_f32 v24, v24, v69, -v2
	v_mul_f32_e32 v25, v71, v27
	v_mul_f32_e32 v2, v70, v27
	v_fmac_f32_e32 v25, v70, v26
	v_fma_f32 v26, v71, v26, -v2
	s_waitcnt vmcnt(7)
	v_mul_f32_e32 v27, v75, v29
	v_mul_f32_e32 v2, v74, v29
	v_fmac_f32_e32 v27, v74, v28
	;; [unrolled: 9-line block ×7, first 2 shown]
	v_fma_f32 v52, v95, v52, -v2
	v_mul_f32_e32 v53, v89, v55
	v_mul_f32_e32 v2, v88, v55
	v_fmac_f32_e32 v53, v88, v54
	v_fma_f32 v54, v89, v54, -v2
	s_waitcnt vmcnt(1)
	v_mul_f32_e32 v2, v92, v17
	v_fma_f32 v62, v93, v16, -v2
	v_mul_f32_e32 v2, v66, v19
	v_fma_f32 v64, v67, v18, -v2
	s_waitcnt vmcnt(0)
	v_mul_f32_e32 v65, v97, v59
	v_mul_f32_e32 v2, v96, v59
	;; [unrolled: 1-line block ×3, first 2 shown]
	v_add_f32_e32 v3, v21, v23
	v_mul_f32_e32 v55, v93, v17
	v_fmac_f32_e32 v65, v96, v58
	v_fma_f32 v58, v97, v58, -v2
	v_fmac_f32_e32 v59, v13, v60
	v_mul_f32_e32 v2, v13, v61
	v_fma_f32 v13, -0.5, v3, v11
	v_fmac_f32_e32 v55, v92, v16
	v_mul_f32_e32 v63, v67, v19
	v_sub_f32_e32 v3, v20, v26
	v_mov_b32_e32 v16, v13
	v_fmac_f32_e32 v63, v66, v18
	v_fma_f32 v60, v14, v60, -v2
	v_fmac_f32_e32 v16, 0xbf737871, v3
	v_sub_f32_e32 v14, v22, v24
	v_sub_f32_e32 v17, v98, v21
	;; [unrolled: 1-line block ×3, first 2 shown]
	v_fmac_f32_e32 v13, 0x3f737871, v3
	v_fmac_f32_e32 v16, 0xbf167918, v14
	v_add_f32_e32 v17, v17, v18
	v_fmac_f32_e32 v13, 0x3f167918, v14
	v_fmac_f32_e32 v16, 0x3e9e377a, v17
	;; [unrolled: 1-line block ×3, first 2 shown]
	v_add_f32_e32 v17, v98, v25
	v_add_f32_e32 v2, v11, v98
	v_fma_f32 v11, -0.5, v17, v11
	v_mov_b32_e32 v18, v11
	v_add_f32_e32 v2, v2, v21
	v_fmac_f32_e32 v18, 0x3f737871, v14
	v_sub_f32_e32 v17, v21, v98
	v_sub_f32_e32 v19, v23, v25
	v_fmac_f32_e32 v11, 0xbf737871, v14
	v_add_f32_e32 v14, v22, v24
	v_add_f32_e32 v2, v2, v23
	v_fmac_f32_e32 v18, 0xbf167918, v3
	v_add_f32_e32 v17, v17, v19
	v_fmac_f32_e32 v11, 0x3f167918, v3
	v_fma_f32 v14, -0.5, v14, v12
	v_add_f32_e32 v2, v2, v25
	v_fmac_f32_e32 v18, 0x3e9e377a, v17
	v_fmac_f32_e32 v11, 0x3e9e377a, v17
	v_sub_f32_e32 v25, v98, v25
	v_mov_b32_e32 v17, v14
	v_fmac_f32_e32 v17, 0x3f737871, v25
	v_sub_f32_e32 v21, v21, v23
	v_sub_f32_e32 v19, v20, v22
	v_sub_f32_e32 v23, v26, v24
	v_fmac_f32_e32 v14, 0xbf737871, v25
	v_fmac_f32_e32 v17, 0x3f167918, v21
	v_add_f32_e32 v19, v19, v23
	v_fmac_f32_e32 v14, 0xbf167918, v21
	v_fmac_f32_e32 v17, 0x3e9e377a, v19
	;; [unrolled: 1-line block ×3, first 2 shown]
	v_add_f32_e32 v19, v20, v26
	v_add_f32_e32 v3, v12, v20
	v_fmac_f32_e32 v12, -0.5, v19
	v_mov_b32_e32 v19, v12
	v_add_f32_e32 v3, v3, v22
	v_fmac_f32_e32 v19, 0xbf737871, v21
	v_sub_f32_e32 v20, v22, v20
	v_sub_f32_e32 v22, v24, v26
	v_fmac_f32_e32 v12, 0x3f737871, v21
	v_add_f32_e32 v21, v29, v31
	v_add_f32_e32 v20, v20, v22
	v_fma_f32 v22, -0.5, v21, v9
	v_add_f32_e32 v3, v3, v24
	v_sub_f32_e32 v21, v28, v34
	v_mov_b32_e32 v24, v22
	v_add_f32_e32 v3, v3, v26
	v_fmac_f32_e32 v19, 0x3f167918, v25
	v_fmac_f32_e32 v12, 0xbf167918, v25
	v_fmac_f32_e32 v24, 0xbf737871, v21
	v_sub_f32_e32 v23, v30, v32
	v_sub_f32_e32 v25, v27, v29
	v_sub_f32_e32 v26, v33, v31
	v_fmac_f32_e32 v22, 0x3f737871, v21
	v_fmac_f32_e32 v24, 0xbf167918, v23
	v_add_f32_e32 v25, v25, v26
	v_fmac_f32_e32 v22, 0x3f167918, v23
	v_fmac_f32_e32 v24, 0x3e9e377a, v25
	;; [unrolled: 1-line block ×3, first 2 shown]
	v_add_f32_e32 v25, v27, v33
	v_fmac_f32_e32 v19, 0x3e9e377a, v20
	v_fmac_f32_e32 v12, 0x3e9e377a, v20
	v_add_f32_e32 v20, v9, v27
	v_fma_f32 v9, -0.5, v25, v9
	v_mov_b32_e32 v26, v9
	v_add_f32_e32 v20, v20, v29
	v_fmac_f32_e32 v26, 0x3f737871, v23
	v_sub_f32_e32 v25, v29, v27
	v_sub_f32_e32 v61, v31, v33
	v_fmac_f32_e32 v9, 0xbf737871, v23
	v_add_f32_e32 v23, v30, v32
	v_add_f32_e32 v20, v20, v31
	v_fmac_f32_e32 v26, 0xbf167918, v21
	v_add_f32_e32 v25, v25, v61
	v_fmac_f32_e32 v9, 0x3f167918, v21
	v_fma_f32 v23, -0.5, v23, v10
	v_add_f32_e32 v20, v20, v33
	v_fmac_f32_e32 v26, 0x3e9e377a, v25
	v_fmac_f32_e32 v9, 0x3e9e377a, v25
	v_sub_f32_e32 v33, v27, v33
	v_mov_b32_e32 v25, v23
	v_fmac_f32_e32 v25, 0x3f737871, v33
	v_sub_f32_e32 v29, v29, v31
	v_sub_f32_e32 v27, v28, v30
	;; [unrolled: 1-line block ×3, first 2 shown]
	v_fmac_f32_e32 v23, 0xbf737871, v33
	v_fmac_f32_e32 v25, 0x3f167918, v29
	v_add_f32_e32 v27, v27, v31
	v_fmac_f32_e32 v23, 0xbf167918, v29
	v_fmac_f32_e32 v25, 0x3e9e377a, v27
	;; [unrolled: 1-line block ×3, first 2 shown]
	v_add_f32_e32 v27, v28, v34
	v_add_f32_e32 v21, v10, v28
	v_fmac_f32_e32 v10, -0.5, v27
	v_mov_b32_e32 v27, v10
	v_add_f32_e32 v21, v21, v30
	v_fmac_f32_e32 v27, 0xbf737871, v29
	v_sub_f32_e32 v28, v30, v28
	v_sub_f32_e32 v30, v32, v34
	v_fmac_f32_e32 v10, 0x3f737871, v29
	v_add_f32_e32 v29, v37, v39
	v_add_f32_e32 v28, v28, v30
	v_fma_f32 v30, -0.5, v29, v4
	v_add_f32_e32 v21, v21, v32
	v_sub_f32_e32 v29, v36, v42
	v_mov_b32_e32 v32, v30
	v_add_f32_e32 v21, v21, v34
	v_fmac_f32_e32 v27, 0x3f167918, v33
	v_fmac_f32_e32 v10, 0xbf167918, v33
	;; [unrolled: 1-line block ×3, first 2 shown]
	v_sub_f32_e32 v31, v38, v40
	v_sub_f32_e32 v33, v35, v37
	v_sub_f32_e32 v34, v41, v39
	v_fmac_f32_e32 v30, 0x3f737871, v29
	v_fmac_f32_e32 v32, 0xbf167918, v31
	v_add_f32_e32 v33, v33, v34
	v_fmac_f32_e32 v30, 0x3f167918, v31
	v_fmac_f32_e32 v32, 0x3e9e377a, v33
	;; [unrolled: 1-line block ×3, first 2 shown]
	v_add_f32_e32 v33, v35, v41
	v_fmac_f32_e32 v27, 0x3e9e377a, v28
	v_fmac_f32_e32 v10, 0x3e9e377a, v28
	v_add_f32_e32 v28, v4, v35
	v_fma_f32 v4, -0.5, v33, v4
	v_mov_b32_e32 v34, v4
	v_add_f32_e32 v28, v28, v37
	v_fmac_f32_e32 v34, 0x3f737871, v31
	v_sub_f32_e32 v33, v37, v35
	v_sub_f32_e32 v61, v39, v41
	v_fmac_f32_e32 v4, 0xbf737871, v31
	v_add_f32_e32 v31, v38, v40
	v_add_f32_e32 v28, v28, v39
	v_fmac_f32_e32 v34, 0xbf167918, v29
	v_add_f32_e32 v33, v33, v61
	v_fmac_f32_e32 v4, 0x3f167918, v29
	v_fma_f32 v31, -0.5, v31, v5
	v_add_f32_e32 v28, v28, v41
	v_fmac_f32_e32 v34, 0x3e9e377a, v33
	v_fmac_f32_e32 v4, 0x3e9e377a, v33
	v_sub_f32_e32 v41, v35, v41
	v_mov_b32_e32 v33, v31
	v_fmac_f32_e32 v33, 0x3f737871, v41
	v_sub_f32_e32 v37, v37, v39
	v_sub_f32_e32 v35, v36, v38
	;; [unrolled: 1-line block ×3, first 2 shown]
	v_fmac_f32_e32 v31, 0xbf737871, v41
	v_fmac_f32_e32 v33, 0x3f167918, v37
	v_add_f32_e32 v35, v35, v39
	v_fmac_f32_e32 v31, 0xbf167918, v37
	v_fmac_f32_e32 v33, 0x3e9e377a, v35
	;; [unrolled: 1-line block ×3, first 2 shown]
	v_add_f32_e32 v35, v36, v42
	v_add_f32_e32 v29, v5, v36
	v_fma_f32 v5, -0.5, v35, v5
	v_mov_b32_e32 v35, v5
	v_add_f32_e32 v29, v29, v38
	v_fmac_f32_e32 v35, 0xbf737871, v37
	v_sub_f32_e32 v36, v38, v36
	v_sub_f32_e32 v38, v40, v42
	v_fmac_f32_e32 v5, 0x3f737871, v37
	v_add_f32_e32 v37, v45, v47
	v_add_f32_e32 v36, v36, v38
	v_fma_f32 v38, -0.5, v37, v6
	v_add_f32_e32 v29, v29, v40
	v_sub_f32_e32 v37, v44, v54
	v_mov_b32_e32 v40, v38
	v_add_f32_e32 v29, v29, v42
	v_fmac_f32_e32 v35, 0x3f167918, v41
	v_fmac_f32_e32 v5, 0xbf167918, v41
	;; [unrolled: 1-line block ×3, first 2 shown]
	v_sub_f32_e32 v39, v46, v52
	v_sub_f32_e32 v41, v43, v45
	;; [unrolled: 1-line block ×3, first 2 shown]
	v_fmac_f32_e32 v38, 0x3f737871, v37
	v_fmac_f32_e32 v40, 0xbf167918, v39
	v_add_f32_e32 v41, v41, v42
	v_fmac_f32_e32 v38, 0x3f167918, v39
	v_fmac_f32_e32 v40, 0x3e9e377a, v41
	;; [unrolled: 1-line block ×3, first 2 shown]
	v_add_f32_e32 v41, v43, v53
	v_fmac_f32_e32 v35, 0x3e9e377a, v36
	v_fmac_f32_e32 v5, 0x3e9e377a, v36
	v_add_f32_e32 v36, v6, v43
	v_fma_f32 v6, -0.5, v41, v6
	v_mov_b32_e32 v42, v6
	v_add_f32_e32 v36, v36, v45
	v_fmac_f32_e32 v42, 0x3f737871, v39
	v_sub_f32_e32 v41, v45, v43
	v_sub_f32_e32 v61, v47, v53
	v_fmac_f32_e32 v6, 0xbf737871, v39
	v_add_f32_e32 v39, v46, v52
	v_add_f32_e32 v36, v36, v47
	v_fmac_f32_e32 v42, 0xbf167918, v37
	v_add_f32_e32 v41, v41, v61
	v_fmac_f32_e32 v6, 0x3f167918, v37
	v_fma_f32 v39, -0.5, v39, v7
	v_add_f32_e32 v36, v36, v53
	v_fmac_f32_e32 v42, 0x3e9e377a, v41
	v_fmac_f32_e32 v6, 0x3e9e377a, v41
	v_sub_f32_e32 v53, v43, v53
	v_mov_b32_e32 v41, v39
	v_fmac_f32_e32 v41, 0x3f737871, v53
	v_sub_f32_e32 v45, v45, v47
	v_sub_f32_e32 v43, v44, v46
	;; [unrolled: 1-line block ×3, first 2 shown]
	v_fmac_f32_e32 v39, 0xbf737871, v53
	v_fmac_f32_e32 v41, 0x3f167918, v45
	v_add_f32_e32 v43, v43, v47
	v_fmac_f32_e32 v39, 0xbf167918, v45
	v_fmac_f32_e32 v41, 0x3e9e377a, v43
	;; [unrolled: 1-line block ×3, first 2 shown]
	v_add_f32_e32 v43, v44, v54
	v_add_f32_e32 v37, v7, v44
	v_fmac_f32_e32 v7, -0.5, v43
	v_mov_b32_e32 v43, v7
	v_add_f32_e32 v37, v37, v46
	v_fmac_f32_e32 v43, 0xbf737871, v45
	v_sub_f32_e32 v44, v46, v44
	v_sub_f32_e32 v46, v52, v54
	v_fmac_f32_e32 v7, 0x3f737871, v45
	v_add_f32_e32 v45, v63, v65
	v_add_f32_e32 v44, v44, v46
	v_fma_f32 v46, -0.5, v45, v0
	v_add_f32_e32 v37, v37, v52
	v_sub_f32_e32 v45, v62, v60
	v_mov_b32_e32 v52, v46
	v_add_f32_e32 v37, v37, v54
	v_fmac_f32_e32 v43, 0x3f167918, v53
	v_fmac_f32_e32 v7, 0xbf167918, v53
	;; [unrolled: 1-line block ×3, first 2 shown]
	v_sub_f32_e32 v47, v64, v58
	v_sub_f32_e32 v53, v55, v63
	;; [unrolled: 1-line block ×3, first 2 shown]
	v_fmac_f32_e32 v46, 0x3f737871, v45
	v_fmac_f32_e32 v52, 0xbf167918, v47
	v_add_f32_e32 v53, v53, v54
	v_fmac_f32_e32 v46, 0x3f167918, v47
	v_fmac_f32_e32 v52, 0x3e9e377a, v53
	;; [unrolled: 1-line block ×3, first 2 shown]
	v_add_f32_e32 v53, v55, v59
	v_fmac_f32_e32 v43, 0x3e9e377a, v44
	v_fmac_f32_e32 v7, 0x3e9e377a, v44
	v_add_f32_e32 v44, v0, v55
	v_fma_f32 v0, -0.5, v53, v0
	v_mov_b32_e32 v54, v0
	v_add_f32_e32 v44, v44, v63
	v_fmac_f32_e32 v54, 0x3f737871, v47
	v_sub_f32_e32 v53, v63, v55
	v_sub_f32_e32 v61, v65, v59
	v_fmac_f32_e32 v0, 0xbf737871, v47
	v_add_f32_e32 v47, v64, v58
	v_add_f32_e32 v44, v44, v65
	v_fmac_f32_e32 v54, 0xbf167918, v45
	v_add_f32_e32 v53, v53, v61
	v_fmac_f32_e32 v0, 0x3f167918, v45
	v_fma_f32 v47, -0.5, v47, v1
	v_add_f32_e32 v44, v44, v59
	v_fmac_f32_e32 v54, 0x3e9e377a, v53
	v_fmac_f32_e32 v0, 0x3e9e377a, v53
	v_sub_f32_e32 v59, v55, v59
	v_mov_b32_e32 v53, v47
	v_fmac_f32_e32 v53, 0x3f737871, v59
	v_sub_f32_e32 v61, v63, v65
	v_sub_f32_e32 v55, v62, v64
	;; [unrolled: 1-line block ×3, first 2 shown]
	v_fmac_f32_e32 v47, 0xbf737871, v59
	v_fmac_f32_e32 v53, 0x3f167918, v61
	v_add_f32_e32 v55, v55, v63
	v_fmac_f32_e32 v47, 0xbf167918, v61
	v_fmac_f32_e32 v53, 0x3e9e377a, v55
	;; [unrolled: 1-line block ×3, first 2 shown]
	v_add_f32_e32 v55, v62, v60
	v_add_f32_e32 v45, v1, v62
	v_fmac_f32_e32 v1, -0.5, v55
	v_add_f32_e32 v45, v45, v64
	v_mov_b32_e32 v55, v1
	v_add_f32_e32 v45, v45, v58
	v_fmac_f32_e32 v55, 0xbf737871, v61
	v_sub_f32_e32 v62, v64, v62
	v_sub_f32_e32 v58, v58, v60
	v_fmac_f32_e32 v1, 0x3f737871, v61
	v_fmac_f32_e32 v55, 0x3f167918, v59
	v_add_f32_e32 v58, v62, v58
	v_fmac_f32_e32 v1, 0xbf167918, v59
	v_add_f32_e32 v45, v45, v60
	v_fmac_f32_e32 v55, 0x3e9e377a, v58
	v_fmac_f32_e32 v1, 0x3e9e377a, v58
	ds_write_b64 v49, v[2:3]
	ds_write_b64 v49, v[16:17] offset:520
	ds_write_b64 v49, v[18:19] offset:1040
	;; [unrolled: 1-line block ×4, first 2 shown]
	ds_write2_b64 v15, v[20:21], v[24:25] offset1:65
	ds_write2_b64 v15, v[26:27], v[9:10] offset0:130 offset1:195
	ds_write_b64 v15, v[22:23] offset:2080
	ds_write2_b64 v49, v[28:29], v[36:37] offset0:26 offset1:39
	ds_write2_b64 v49, v[32:33], v[40:41] offset0:91 offset1:104
	;; [unrolled: 1-line block ×5, first 2 shown]
	ds_write_b64 v49, v[44:45] offset:416
	ds_write_b64 v49, v[52:53] offset:936
	;; [unrolled: 1-line block ×5, first 2 shown]
	s_waitcnt lgkmcnt(0)
	; wave barrier
	s_waitcnt lgkmcnt(0)
	s_and_saveexec_b64 s[0:1], vcc
	s_cbranch_execz .LBB0_17
; %bb.16:
	v_mov_b32_e32 v49, v8
	v_mov_b32_e32 v4, s3
	v_add_co_u32_e32 v10, vcc, s2, v50
	v_lshlrev_b64 v[8:9], 3, v[48:49]
	ds_read2_b64 v[0:3], v56 offset1:13
	v_addc_co_u32_e32 v11, vcc, v4, v51, vcc
	ds_read2_b64 v[4:7], v56 offset0:26 offset1:39
	v_add_co_u32_e32 v12, vcc, v10, v8
	v_addc_co_u32_e32 v13, vcc, v11, v9, vcc
	ds_read2_b64 v[8:11], v56 offset0:52 offset1:65
	s_waitcnt lgkmcnt(2)
	global_store_dwordx2 v[12:13], v[0:1], off
	global_store_dwordx2 v[12:13], v[2:3], off offset:104
	s_waitcnt lgkmcnt(1)
	global_store_dwordx2 v[12:13], v[4:5], off offset:208
	ds_read2_b64 v[0:3], v56 offset0:78 offset1:91
	global_store_dwordx2 v[12:13], v[6:7], off offset:312
	s_waitcnt lgkmcnt(1)
	global_store_dwordx2 v[12:13], v[8:9], off offset:416
	ds_read2_b64 v[4:7], v56 offset0:104 offset1:117
	;; [unrolled: 4-line block ×6, first 2 shown]
	global_store_dwordx2 v[12:13], v[2:3], off offset:1352
	s_waitcnt lgkmcnt(1)
	global_store_dwordx2 v[12:13], v[4:5], off offset:1456
	global_store_dwordx2 v[12:13], v[6:7], off offset:1560
	ds_read2_b64 v[0:3], v56 offset0:234 offset1:247
	s_waitcnt lgkmcnt(1)
	global_store_dwordx2 v[12:13], v[8:9], off offset:1664
	global_store_dwordx2 v[12:13], v[10:11], off offset:1768
	v_add_u32_e32 v8, 0x800, v56
	ds_read2_b64 v[4:7], v8 offset0:4 offset1:17
	ds_read2_b64 v[8:11], v8 offset0:30 offset1:43
	s_waitcnt lgkmcnt(2)
	global_store_dwordx2 v[12:13], v[0:1], off offset:1872
	ds_read_b64 v[0:1], v56 offset:2496
	global_store_dwordx2 v[12:13], v[2:3], off offset:1976
	s_waitcnt lgkmcnt(2)
	global_store_dwordx2 v[12:13], v[4:5], off offset:2080
	global_store_dwordx2 v[12:13], v[6:7], off offset:2184
	s_waitcnt lgkmcnt(1)
	global_store_dwordx2 v[12:13], v[8:9], off offset:2288
	;; [unrolled: 3-line block ×3, first 2 shown]
.LBB0_17:
	s_endpgm
	.section	.rodata,"a",@progbits
	.p2align	6, 0x0
	.amdhsa_kernel fft_rtc_back_len325_factors_13_5_5_wgs_52_tpt_13_sp_ip_CI_unitstride_sbrr_dirReg
		.amdhsa_group_segment_fixed_size 0
		.amdhsa_private_segment_fixed_size 0
		.amdhsa_kernarg_size 88
		.amdhsa_user_sgpr_count 6
		.amdhsa_user_sgpr_private_segment_buffer 1
		.amdhsa_user_sgpr_dispatch_ptr 0
		.amdhsa_user_sgpr_queue_ptr 0
		.amdhsa_user_sgpr_kernarg_segment_ptr 1
		.amdhsa_user_sgpr_dispatch_id 0
		.amdhsa_user_sgpr_flat_scratch_init 0
		.amdhsa_user_sgpr_private_segment_size 0
		.amdhsa_uses_dynamic_stack 0
		.amdhsa_system_sgpr_private_segment_wavefront_offset 0
		.amdhsa_system_sgpr_workgroup_id_x 1
		.amdhsa_system_sgpr_workgroup_id_y 0
		.amdhsa_system_sgpr_workgroup_id_z 0
		.amdhsa_system_sgpr_workgroup_info 0
		.amdhsa_system_vgpr_workitem_id 0
		.amdhsa_next_free_vgpr 126
		.amdhsa_next_free_sgpr 22
		.amdhsa_reserve_vcc 1
		.amdhsa_reserve_flat_scratch 0
		.amdhsa_float_round_mode_32 0
		.amdhsa_float_round_mode_16_64 0
		.amdhsa_float_denorm_mode_32 3
		.amdhsa_float_denorm_mode_16_64 3
		.amdhsa_dx10_clamp 1
		.amdhsa_ieee_mode 1
		.amdhsa_fp16_overflow 0
		.amdhsa_exception_fp_ieee_invalid_op 0
		.amdhsa_exception_fp_denorm_src 0
		.amdhsa_exception_fp_ieee_div_zero 0
		.amdhsa_exception_fp_ieee_overflow 0
		.amdhsa_exception_fp_ieee_underflow 0
		.amdhsa_exception_fp_ieee_inexact 0
		.amdhsa_exception_int_div_zero 0
	.end_amdhsa_kernel
	.text
.Lfunc_end0:
	.size	fft_rtc_back_len325_factors_13_5_5_wgs_52_tpt_13_sp_ip_CI_unitstride_sbrr_dirReg, .Lfunc_end0-fft_rtc_back_len325_factors_13_5_5_wgs_52_tpt_13_sp_ip_CI_unitstride_sbrr_dirReg
                                        ; -- End function
	.section	.AMDGPU.csdata,"",@progbits
; Kernel info:
; codeLenInByte = 13292
; NumSgprs: 26
; NumVgprs: 126
; ScratchSize: 0
; MemoryBound: 0
; FloatMode: 240
; IeeeMode: 1
; LDSByteSize: 0 bytes/workgroup (compile time only)
; SGPRBlocks: 3
; VGPRBlocks: 31
; NumSGPRsForWavesPerEU: 26
; NumVGPRsForWavesPerEU: 126
; Occupancy: 2
; WaveLimiterHint : 1
; COMPUTE_PGM_RSRC2:SCRATCH_EN: 0
; COMPUTE_PGM_RSRC2:USER_SGPR: 6
; COMPUTE_PGM_RSRC2:TRAP_HANDLER: 0
; COMPUTE_PGM_RSRC2:TGID_X_EN: 1
; COMPUTE_PGM_RSRC2:TGID_Y_EN: 0
; COMPUTE_PGM_RSRC2:TGID_Z_EN: 0
; COMPUTE_PGM_RSRC2:TIDIG_COMP_CNT: 0
	.type	__hip_cuid_b0227f2203e8fe4,@object ; @__hip_cuid_b0227f2203e8fe4
	.section	.bss,"aw",@nobits
	.globl	__hip_cuid_b0227f2203e8fe4
__hip_cuid_b0227f2203e8fe4:
	.byte	0                               ; 0x0
	.size	__hip_cuid_b0227f2203e8fe4, 1

	.ident	"AMD clang version 19.0.0git (https://github.com/RadeonOpenCompute/llvm-project roc-6.4.0 25133 c7fe45cf4b819c5991fe208aaa96edf142730f1d)"
	.section	".note.GNU-stack","",@progbits
	.addrsig
	.addrsig_sym __hip_cuid_b0227f2203e8fe4
	.amdgpu_metadata
---
amdhsa.kernels:
  - .args:
      - .actual_access:  read_only
        .address_space:  global
        .offset:         0
        .size:           8
        .value_kind:     global_buffer
      - .offset:         8
        .size:           8
        .value_kind:     by_value
      - .actual_access:  read_only
        .address_space:  global
        .offset:         16
        .size:           8
        .value_kind:     global_buffer
      - .actual_access:  read_only
        .address_space:  global
        .offset:         24
        .size:           8
        .value_kind:     global_buffer
      - .offset:         32
        .size:           8
        .value_kind:     by_value
      - .actual_access:  read_only
        .address_space:  global
        .offset:         40
        .size:           8
        .value_kind:     global_buffer
      - .actual_access:  read_only
        .address_space:  global
        .offset:         48
        .size:           8
        .value_kind:     global_buffer
      - .offset:         56
        .size:           4
        .value_kind:     by_value
      - .actual_access:  read_only
        .address_space:  global
        .offset:         64
        .size:           8
        .value_kind:     global_buffer
      - .actual_access:  read_only
        .address_space:  global
        .offset:         72
        .size:           8
        .value_kind:     global_buffer
      - .address_space:  global
        .offset:         80
        .size:           8
        .value_kind:     global_buffer
    .group_segment_fixed_size: 0
    .kernarg_segment_align: 8
    .kernarg_segment_size: 88
    .language:       OpenCL C
    .language_version:
      - 2
      - 0
    .max_flat_workgroup_size: 52
    .name:           fft_rtc_back_len325_factors_13_5_5_wgs_52_tpt_13_sp_ip_CI_unitstride_sbrr_dirReg
    .private_segment_fixed_size: 0
    .sgpr_count:     26
    .sgpr_spill_count: 0
    .symbol:         fft_rtc_back_len325_factors_13_5_5_wgs_52_tpt_13_sp_ip_CI_unitstride_sbrr_dirReg.kd
    .uniform_work_group_size: 1
    .uses_dynamic_stack: false
    .vgpr_count:     126
    .vgpr_spill_count: 0
    .wavefront_size: 64
amdhsa.target:   amdgcn-amd-amdhsa--gfx906
amdhsa.version:
  - 1
  - 2
...

	.end_amdgpu_metadata
